;; amdgpu-corpus repo=ROCm/rocFFT kind=compiled arch=gfx1201 opt=O3
	.text
	.amdgcn_target "amdgcn-amd-amdhsa--gfx1201"
	.amdhsa_code_object_version 6
	.protected	fft_rtc_fwd_len1352_factors_2_13_13_4_wgs_52_tpt_52_halfLds_half_ip_CI_unitstride_sbrr_dirReg ; -- Begin function fft_rtc_fwd_len1352_factors_2_13_13_4_wgs_52_tpt_52_halfLds_half_ip_CI_unitstride_sbrr_dirReg
	.globl	fft_rtc_fwd_len1352_factors_2_13_13_4_wgs_52_tpt_52_halfLds_half_ip_CI_unitstride_sbrr_dirReg
	.p2align	8
	.type	fft_rtc_fwd_len1352_factors_2_13_13_4_wgs_52_tpt_52_halfLds_half_ip_CI_unitstride_sbrr_dirReg,@function
fft_rtc_fwd_len1352_factors_2_13_13_4_wgs_52_tpt_52_halfLds_half_ip_CI_unitstride_sbrr_dirReg: ; @fft_rtc_fwd_len1352_factors_2_13_13_4_wgs_52_tpt_52_halfLds_half_ip_CI_unitstride_sbrr_dirReg
; %bb.0:
	s_clause 0x2
	s_load_b128 s[4:7], s[0:1], 0x0
	s_load_b64 s[8:9], s[0:1], 0x50
	s_load_b64 s[10:11], s[0:1], 0x18
	v_mul_u32_u24_e32 v1, 0x4ed, v0
	v_mov_b32_e32 v3, 0
	s_delay_alu instid0(VALU_DEP_2) | instskip(NEXT) | instid1(VALU_DEP_1)
	v_lshrrev_b32_e32 v1, 16, v1
	v_add_nc_u32_e32 v5, ttmp9, v1
	v_mov_b32_e32 v1, 0
	v_mov_b32_e32 v2, 0
	;; [unrolled: 1-line block ×3, first 2 shown]
	s_wait_kmcnt 0x0
	v_cmp_lt_u64_e64 s2, s[6:7], 2
	s_delay_alu instid0(VALU_DEP_1)
	s_and_b32 vcc_lo, exec_lo, s2
	s_cbranch_vccnz .LBB0_8
; %bb.1:
	s_load_b64 s[2:3], s[0:1], 0x10
	v_mov_b32_e32 v1, 0
	v_mov_b32_e32 v2, 0
	s_add_nc_u64 s[12:13], s[10:11], 8
	s_mov_b64 s[14:15], 1
	s_wait_kmcnt 0x0
	s_add_nc_u64 s[16:17], s[2:3], 8
	s_mov_b32 s3, 0
.LBB0_2:                                ; =>This Inner Loop Header: Depth=1
	s_load_b64 s[18:19], s[16:17], 0x0
                                        ; implicit-def: $vgpr7_vgpr8
	s_mov_b32 s2, exec_lo
	s_wait_kmcnt 0x0
	v_or_b32_e32 v4, s19, v6
	s_delay_alu instid0(VALU_DEP_1)
	v_cmpx_ne_u64_e32 0, v[3:4]
	s_wait_alu 0xfffe
	s_xor_b32 s20, exec_lo, s2
	s_cbranch_execz .LBB0_4
; %bb.3:                                ;   in Loop: Header=BB0_2 Depth=1
	s_cvt_f32_u32 s2, s18
	s_cvt_f32_u32 s21, s19
	s_sub_nc_u64 s[24:25], 0, s[18:19]
	s_wait_alu 0xfffe
	s_delay_alu instid0(SALU_CYCLE_1) | instskip(SKIP_1) | instid1(SALU_CYCLE_2)
	s_fmamk_f32 s2, s21, 0x4f800000, s2
	s_wait_alu 0xfffe
	v_s_rcp_f32 s2, s2
	s_delay_alu instid0(TRANS32_DEP_1) | instskip(SKIP_1) | instid1(SALU_CYCLE_2)
	s_mul_f32 s2, s2, 0x5f7ffffc
	s_wait_alu 0xfffe
	s_mul_f32 s21, s2, 0x2f800000
	s_wait_alu 0xfffe
	s_delay_alu instid0(SALU_CYCLE_2) | instskip(SKIP_1) | instid1(SALU_CYCLE_2)
	s_trunc_f32 s21, s21
	s_wait_alu 0xfffe
	s_fmamk_f32 s2, s21, 0xcf800000, s2
	s_cvt_u32_f32 s23, s21
	s_wait_alu 0xfffe
	s_delay_alu instid0(SALU_CYCLE_1) | instskip(SKIP_1) | instid1(SALU_CYCLE_2)
	s_cvt_u32_f32 s22, s2
	s_wait_alu 0xfffe
	s_mul_u64 s[26:27], s[24:25], s[22:23]
	s_wait_alu 0xfffe
	s_mul_hi_u32 s29, s22, s27
	s_mul_i32 s28, s22, s27
	s_mul_hi_u32 s2, s22, s26
	s_mul_i32 s30, s23, s26
	s_wait_alu 0xfffe
	s_add_nc_u64 s[28:29], s[2:3], s[28:29]
	s_mul_hi_u32 s21, s23, s26
	s_mul_hi_u32 s31, s23, s27
	s_add_co_u32 s2, s28, s30
	s_wait_alu 0xfffe
	s_add_co_ci_u32 s2, s29, s21
	s_mul_i32 s26, s23, s27
	s_add_co_ci_u32 s27, s31, 0
	s_wait_alu 0xfffe
	s_add_nc_u64 s[26:27], s[2:3], s[26:27]
	s_wait_alu 0xfffe
	v_add_co_u32 v4, s2, s22, s26
	s_delay_alu instid0(VALU_DEP_1) | instskip(SKIP_1) | instid1(VALU_DEP_1)
	s_cmp_lg_u32 s2, 0
	s_add_co_ci_u32 s23, s23, s27
	v_readfirstlane_b32 s22, v4
	s_wait_alu 0xfffe
	s_delay_alu instid0(VALU_DEP_1)
	s_mul_u64 s[24:25], s[24:25], s[22:23]
	s_wait_alu 0xfffe
	s_mul_hi_u32 s27, s22, s25
	s_mul_i32 s26, s22, s25
	s_mul_hi_u32 s2, s22, s24
	s_mul_i32 s28, s23, s24
	s_wait_alu 0xfffe
	s_add_nc_u64 s[26:27], s[2:3], s[26:27]
	s_mul_hi_u32 s21, s23, s24
	s_mul_hi_u32 s22, s23, s25
	s_wait_alu 0xfffe
	s_add_co_u32 s2, s26, s28
	s_add_co_ci_u32 s2, s27, s21
	s_mul_i32 s24, s23, s25
	s_add_co_ci_u32 s25, s22, 0
	s_wait_alu 0xfffe
	s_add_nc_u64 s[24:25], s[2:3], s[24:25]
	s_wait_alu 0xfffe
	v_add_co_u32 v4, s2, v4, s24
	s_delay_alu instid0(VALU_DEP_1) | instskip(SKIP_1) | instid1(VALU_DEP_1)
	s_cmp_lg_u32 s2, 0
	s_add_co_ci_u32 s2, s23, s25
	v_mul_hi_u32 v13, v5, v4
	s_wait_alu 0xfffe
	v_mad_co_u64_u32 v[7:8], null, v5, s2, 0
	v_mad_co_u64_u32 v[9:10], null, v6, v4, 0
	;; [unrolled: 1-line block ×3, first 2 shown]
	s_delay_alu instid0(VALU_DEP_3) | instskip(SKIP_1) | instid1(VALU_DEP_4)
	v_add_co_u32 v4, vcc_lo, v13, v7
	s_wait_alu 0xfffd
	v_add_co_ci_u32_e32 v7, vcc_lo, 0, v8, vcc_lo
	s_delay_alu instid0(VALU_DEP_2) | instskip(SKIP_1) | instid1(VALU_DEP_2)
	v_add_co_u32 v4, vcc_lo, v4, v9
	s_wait_alu 0xfffd
	v_add_co_ci_u32_e32 v4, vcc_lo, v7, v10, vcc_lo
	s_wait_alu 0xfffd
	v_add_co_ci_u32_e32 v7, vcc_lo, 0, v12, vcc_lo
	s_delay_alu instid0(VALU_DEP_2) | instskip(SKIP_1) | instid1(VALU_DEP_2)
	v_add_co_u32 v4, vcc_lo, v4, v11
	s_wait_alu 0xfffd
	v_add_co_ci_u32_e32 v9, vcc_lo, 0, v7, vcc_lo
	s_delay_alu instid0(VALU_DEP_2) | instskip(SKIP_1) | instid1(VALU_DEP_3)
	v_mul_lo_u32 v10, s19, v4
	v_mad_co_u64_u32 v[7:8], null, s18, v4, 0
	v_mul_lo_u32 v11, s18, v9
	s_delay_alu instid0(VALU_DEP_2) | instskip(NEXT) | instid1(VALU_DEP_2)
	v_sub_co_u32 v7, vcc_lo, v5, v7
	v_add3_u32 v8, v8, v11, v10
	s_delay_alu instid0(VALU_DEP_1) | instskip(SKIP_1) | instid1(VALU_DEP_1)
	v_sub_nc_u32_e32 v10, v6, v8
	s_wait_alu 0xfffd
	v_subrev_co_ci_u32_e64 v10, s2, s19, v10, vcc_lo
	v_add_co_u32 v11, s2, v4, 2
	s_wait_alu 0xf1ff
	v_add_co_ci_u32_e64 v12, s2, 0, v9, s2
	v_sub_co_u32 v13, s2, v7, s18
	v_sub_co_ci_u32_e32 v8, vcc_lo, v6, v8, vcc_lo
	s_wait_alu 0xf1ff
	v_subrev_co_ci_u32_e64 v10, s2, 0, v10, s2
	s_delay_alu instid0(VALU_DEP_3) | instskip(NEXT) | instid1(VALU_DEP_3)
	v_cmp_le_u32_e32 vcc_lo, s18, v13
	v_cmp_eq_u32_e64 s2, s19, v8
	s_wait_alu 0xfffd
	v_cndmask_b32_e64 v13, 0, -1, vcc_lo
	v_cmp_le_u32_e32 vcc_lo, s19, v10
	s_wait_alu 0xfffd
	v_cndmask_b32_e64 v14, 0, -1, vcc_lo
	v_cmp_le_u32_e32 vcc_lo, s18, v7
	;; [unrolled: 3-line block ×3, first 2 shown]
	s_wait_alu 0xfffd
	v_cndmask_b32_e64 v15, 0, -1, vcc_lo
	v_cmp_eq_u32_e32 vcc_lo, s19, v10
	s_wait_alu 0xf1ff
	s_delay_alu instid0(VALU_DEP_2)
	v_cndmask_b32_e64 v7, v15, v7, s2
	s_wait_alu 0xfffd
	v_cndmask_b32_e32 v10, v14, v13, vcc_lo
	v_add_co_u32 v13, vcc_lo, v4, 1
	s_wait_alu 0xfffd
	v_add_co_ci_u32_e32 v14, vcc_lo, 0, v9, vcc_lo
	s_delay_alu instid0(VALU_DEP_3) | instskip(SKIP_2) | instid1(VALU_DEP_3)
	v_cmp_ne_u32_e32 vcc_lo, 0, v10
	s_wait_alu 0xfffd
	v_cndmask_b32_e32 v10, v13, v11, vcc_lo
	v_cndmask_b32_e32 v8, v14, v12, vcc_lo
	v_cmp_ne_u32_e32 vcc_lo, 0, v7
	s_wait_alu 0xfffd
	s_delay_alu instid0(VALU_DEP_2)
	v_dual_cndmask_b32 v7, v4, v10 :: v_dual_cndmask_b32 v8, v9, v8
.LBB0_4:                                ;   in Loop: Header=BB0_2 Depth=1
	s_wait_alu 0xfffe
	s_and_not1_saveexec_b32 s2, s20
	s_cbranch_execz .LBB0_6
; %bb.5:                                ;   in Loop: Header=BB0_2 Depth=1
	v_cvt_f32_u32_e32 v4, s18
	s_sub_co_i32 s20, 0, s18
	s_delay_alu instid0(VALU_DEP_1) | instskip(NEXT) | instid1(TRANS32_DEP_1)
	v_rcp_iflag_f32_e32 v4, v4
	v_mul_f32_e32 v4, 0x4f7ffffe, v4
	s_delay_alu instid0(VALU_DEP_1) | instskip(SKIP_1) | instid1(VALU_DEP_1)
	v_cvt_u32_f32_e32 v4, v4
	s_wait_alu 0xfffe
	v_mul_lo_u32 v7, s20, v4
	s_delay_alu instid0(VALU_DEP_1) | instskip(NEXT) | instid1(VALU_DEP_1)
	v_mul_hi_u32 v7, v4, v7
	v_add_nc_u32_e32 v4, v4, v7
	s_delay_alu instid0(VALU_DEP_1) | instskip(NEXT) | instid1(VALU_DEP_1)
	v_mul_hi_u32 v4, v5, v4
	v_mul_lo_u32 v7, v4, s18
	v_add_nc_u32_e32 v8, 1, v4
	s_delay_alu instid0(VALU_DEP_2) | instskip(NEXT) | instid1(VALU_DEP_1)
	v_sub_nc_u32_e32 v7, v5, v7
	v_subrev_nc_u32_e32 v9, s18, v7
	v_cmp_le_u32_e32 vcc_lo, s18, v7
	s_wait_alu 0xfffd
	s_delay_alu instid0(VALU_DEP_2) | instskip(NEXT) | instid1(VALU_DEP_1)
	v_dual_cndmask_b32 v7, v7, v9 :: v_dual_cndmask_b32 v4, v4, v8
	v_cmp_le_u32_e32 vcc_lo, s18, v7
	s_delay_alu instid0(VALU_DEP_2) | instskip(SKIP_1) | instid1(VALU_DEP_1)
	v_add_nc_u32_e32 v8, 1, v4
	s_wait_alu 0xfffd
	v_dual_cndmask_b32 v7, v4, v8 :: v_dual_mov_b32 v8, v3
.LBB0_6:                                ;   in Loop: Header=BB0_2 Depth=1
	s_wait_alu 0xfffe
	s_or_b32 exec_lo, exec_lo, s2
	s_load_b64 s[20:21], s[12:13], 0x0
	s_delay_alu instid0(VALU_DEP_1)
	v_mul_lo_u32 v4, v8, s18
	v_mul_lo_u32 v11, v7, s19
	v_mad_co_u64_u32 v[9:10], null, v7, s18, 0
	s_add_nc_u64 s[14:15], s[14:15], 1
	s_add_nc_u64 s[12:13], s[12:13], 8
	s_wait_alu 0xfffe
	v_cmp_ge_u64_e64 s2, s[14:15], s[6:7]
	s_add_nc_u64 s[16:17], s[16:17], 8
	s_delay_alu instid0(VALU_DEP_2) | instskip(NEXT) | instid1(VALU_DEP_3)
	v_add3_u32 v4, v10, v11, v4
	v_sub_co_u32 v5, vcc_lo, v5, v9
	s_wait_alu 0xfffd
	s_delay_alu instid0(VALU_DEP_2) | instskip(SKIP_3) | instid1(VALU_DEP_2)
	v_sub_co_ci_u32_e32 v4, vcc_lo, v6, v4, vcc_lo
	s_and_b32 vcc_lo, exec_lo, s2
	s_wait_kmcnt 0x0
	v_mul_lo_u32 v6, s21, v5
	v_mul_lo_u32 v4, s20, v4
	v_mad_co_u64_u32 v[1:2], null, s20, v5, v[1:2]
	s_delay_alu instid0(VALU_DEP_1)
	v_add3_u32 v2, v6, v2, v4
	s_wait_alu 0xfffe
	s_cbranch_vccnz .LBB0_9
; %bb.7:                                ;   in Loop: Header=BB0_2 Depth=1
	v_dual_mov_b32 v5, v7 :: v_dual_mov_b32 v6, v8
	s_branch .LBB0_2
.LBB0_8:
	v_dual_mov_b32 v8, v6 :: v_dual_mov_b32 v7, v5
.LBB0_9:
	s_lshl_b64 s[2:3], s[6:7], 3
	v_mul_hi_u32 v14, 0x4ec4ec5, v0
	s_wait_alu 0xfffe
	s_add_nc_u64 s[2:3], s[10:11], s[2:3]
	v_dual_mov_b32 v4, 0 :: v_dual_mov_b32 v13, 0
	s_load_b64 s[2:3], s[2:3], 0x0
	s_load_b64 s[0:1], s[0:1], 0x20
	v_dual_mov_b32 v12, 0 :: v_dual_mov_b32 v11, 0
	v_dual_mov_b32 v10, 0 :: v_dual_mov_b32 v9, 0
	;; [unrolled: 1-line block ×4, first 2 shown]
                                        ; implicit-def: $vgpr40
                                        ; implicit-def: $vgpr41
                                        ; implicit-def: $vgpr42
                                        ; implicit-def: $vgpr39
                                        ; implicit-def: $vgpr30
                                        ; implicit-def: $vgpr37
                                        ; implicit-def: $vgpr28
                                        ; implicit-def: $vgpr38
                                        ; implicit-def: $vgpr27
                                        ; implicit-def: $vgpr36
                                        ; implicit-def: $vgpr26
                                        ; implicit-def: $vgpr34
                                        ; implicit-def: $vgpr22
                                        ; implicit-def: $vgpr35
                                        ; implicit-def: $vgpr23
                                        ; implicit-def: $vgpr33
                                        ; implicit-def: $vgpr21
                                        ; implicit-def: $vgpr31
                                        ; implicit-def: $vgpr24
                                        ; implicit-def: $vgpr32
                                        ; implicit-def: $vgpr20
                                        ; implicit-def: $vgpr29
                                        ; implicit-def: $vgpr25
	s_wait_kmcnt 0x0
	v_mul_lo_u32 v15, s2, v8
	v_mul_lo_u32 v19, s3, v7
	v_mad_co_u64_u32 v[17:18], null, s2, v7, v[1:2]
	v_mul_u32_u24_e32 v1, 52, v14
	v_cmp_gt_u64_e32 vcc_lo, s[0:1], v[7:8]
	v_dual_mov_b32 v8, 0 :: v_dual_mov_b32 v7, 0
	v_mov_b32_e32 v14, 0
	s_delay_alu instid0(VALU_DEP_4) | instskip(SKIP_2) | instid1(VALU_DEP_2)
	v_sub_nc_u32_e32 v2, v0, v1
	v_add3_u32 v18, v19, v18, v15
	v_mov_b32_e32 v15, 0
                                        ; implicit-def: $vgpr19
	v_lshlrev_b64_e32 v[0:1], 2, v[17:18]
                                        ; implicit-def: $vgpr17
                                        ; implicit-def: $vgpr18
	s_and_saveexec_b32 s1, vcc_lo
	s_cbranch_execz .LBB0_11
; %bb.10:
	v_mov_b32_e32 v3, 0
	s_delay_alu instid0(VALU_DEP_1) | instskip(NEXT) | instid1(VALU_DEP_3)
	v_lshlrev_b64_e32 v[5:6], 2, v[2:3]
	v_add_co_u32 v3, s0, s8, v0
	s_wait_alu 0xf1ff
	v_add_co_ci_u32_e64 v7, s0, s9, v1, s0
	s_delay_alu instid0(VALU_DEP_2) | instskip(SKIP_1) | instid1(VALU_DEP_2)
	v_add_co_u32 v31, s0, v3, v5
	s_wait_alu 0xf1ff
	v_add_co_ci_u32_e64 v32, s0, v7, v6, s0
	s_clause 0x19
	global_load_b32 v17, v[31:32], off offset:2704
	global_load_b32 v18, v[31:32], off offset:2912
	;; [unrolled: 1-line block ×3, first 2 shown]
	global_load_b32 v12, v[31:32], off
	global_load_b32 v13, v[31:32], off offset:208
	global_load_b32 v10, v[31:32], off offset:416
	;; [unrolled: 1-line block ×22, first 2 shown]
	s_wait_loadcnt 0x19
	v_lshrrev_b32_e32 v40, 16, v17
	s_wait_loadcnt 0x18
	v_lshrrev_b32_e32 v41, 16, v18
	;; [unrolled: 2-line block ×13, first 2 shown]
.LBB0_11:
	s_wait_alu 0xfffe
	s_or_b32 exec_lo, exec_lo, s1
	v_sub_f16_e32 v27, v5, v27
	v_lshrrev_b32_e32 v48, 16, v5
	v_sub_f16_e32 v26, v6, v26
	v_sub_f16_e32 v19, v10, v19
	v_lshrrev_b32_e32 v49, 16, v6
	v_fma_f16 v51, v5, 2.0, -v27
	v_lshrrev_b32_e32 v5, 16, v3
	v_fma_f16 v52, v6, 2.0, -v26
	s_wait_loadcnt 0x4
	v_lshrrev_b32_e32 v6, 16, v16
	v_lshrrev_b32_e32 v45, 16, v10
	v_fma_f16 v47, v10, 2.0, -v19
	v_sub_f16_e32 v34, v5, v34
	v_lshrrev_b32_e32 v10, 16, v9
	v_sub_f16_e32 v17, v12, v17
	v_sub_f16_e32 v35, v6, v35
	v_lshrrev_b32_e32 v43, 16, v12
	v_fma_f16 v53, v5, 2.0, -v34
	s_wait_loadcnt 0x2
	v_lshrrev_b32_e32 v5, 16, v14
	v_sub_f16_e32 v37, v10, v37
	v_fma_f16 v12, v12, 2.0, -v17
	s_wait_loadcnt 0x0
	v_sub_f16_e32 v25, v7, v25
	v_fma_f16 v54, v6, 2.0, -v35
	v_sub_f16_e32 v31, v5, v31
	v_lshrrev_b32_e32 v6, 16, v8
	v_fma_f16 v50, v10, 2.0, -v37
	v_lshrrev_b32_e32 v10, 16, v15
	v_sub_f16_e32 v30, v11, v30
	v_sub_f16_e32 v28, v9, v28
	;; [unrolled: 1-line block ×3, first 2 shown]
	v_lshrrev_b32_e32 v56, 16, v7
	v_fma_f16 v57, v5, 2.0, -v31
	v_fma_f16 v59, v7, 2.0, -v25
	v_lshl_add_u32 v60, v2, 2, 0
	v_pack_b32_f16 v5, v12, v17
	v_pack_b32_f16 v7, v47, v19
	v_sub_f16_e32 v23, v16, v23
	v_sub_f16_e32 v21, v15, v21
	;; [unrolled: 1-line block ×9, first 2 shown]
	v_lshrrev_b32_e32 v46, 16, v11
	v_fma_f16 v11, v11, 2.0, -v30
	v_fma_f16 v9, v9, 2.0, -v28
	v_sub_f16_e32 v38, v48, v38
	v_fma_f16 v3, v3, 2.0, -v22
	ds_store_2addr_b32 v60, v5, v7 offset1:104
	v_add_nc_u32_e32 v5, 0x104, v2
	v_sub_f16_e32 v36, v49, v36
	v_fma_f16 v16, v16, 2.0, -v23
	v_fma_f16 v15, v15, 2.0, -v21
	v_add_nc_u32_e32 v7, 0x138, v2
	v_fma_f16 v14, v14, 2.0, -v24
	v_fma_f16 v8, v8, 2.0, -v20
	v_lshrrev_b32_e32 v44, 16, v13
	v_fma_f16 v13, v13, 2.0, -v18
	v_fma_f16 v58, v6, 2.0, -v32
	v_add_nc_u32_e32 v6, 0xd0, v2
	v_fma_f16 v55, v10, 2.0, -v33
	v_add_nc_u32_e32 v10, 52, v2
	v_fma_f16 v43, v43, 2.0, -v40
	v_fma_f16 v45, v45, 2.0, -v42
	v_sub_f16_e32 v39, v46, v39
	v_fma_f16 v48, v48, 2.0, -v38
	v_pack_b32_f16 v11, v11, v30
	v_pack_b32_f16 v9, v9, v28
	v_lshl_add_u32 v28, v5, 2, 0
	v_pack_b32_f16 v17, v51, v27
	v_pack_b32_f16 v3, v3, v22
	v_add_nc_u32_e32 v22, 0x200, v60
	v_fma_f16 v49, v49, 2.0, -v36
	v_lshl_add_u32 v27, v7, 2, 0
	v_pack_b32_f16 v26, v52, v26
	v_pack_b32_f16 v16, v16, v23
	;; [unrolled: 1-line block ×3, first 2 shown]
	v_add_nc_u32_e32 v21, 0x400, v60
	v_pack_b32_f16 v14, v14, v24
	v_pack_b32_f16 v8, v8, v20
	v_add_nc_u32_e32 v20, 0x800, v60
	v_pack_b32_f16 v13, v13, v18
	v_lshl_add_u32 v18, v6, 2, 0
	v_lshl_add_u32 v19, v10, 2, 0
	v_fma_f16 v46, v46, 2.0, -v39
	v_sub_f16_e32 v29, v56, v29
	ds_store_b32 v28, v17
	ds_store_b32 v27, v26
	v_pack_b32_f16 v17, v59, v25
	ds_store_2addr_b32 v22, v11, v3 offset0:28 offset1:236
	ds_store_2addr_b32 v21, v16, v15 offset0:160 offset1:212
	;; [unrolled: 1-line block ×3, first 2 shown]
	ds_store_b32 v18, v9
	ds_store_b32 v19, v13
	ds_store_b32 v60, v17 offset:2496
	v_lshl_add_u32 v8, v2, 1, 0
	v_pack_b32_f16 v3, v43, v40
	v_pack_b32_f16 v9, v45, v42
	v_pack_b32_f16 v16, v48, v38
	v_pack_b32_f16 v25, v49, v36
	v_sub_f16_e32 v41, v44, v41
	v_fma_f16 v12, v56, 2.0, -v29
	global_wb scope:SCOPE_SE
	s_wait_dscnt 0x0
	s_barrier_signal -1
	s_barrier_wait -1
	global_inv scope:SCOPE_SE
	ds_load_u16 v14, v8
	ds_load_u16 v13, v8 offset:832
	ds_load_u16 v23, v8 offset:1664
	;; [unrolled: 1-line block ×25, first 2 shown]
	global_wb scope:SCOPE_SE
	s_wait_dscnt 0x0
	s_barrier_signal -1
	s_barrier_wait -1
	global_inv scope:SCOPE_SE
	ds_store_2addr_b32 v60, v3, v9 offset1:104
	v_pack_b32_f16 v9, v46, v39
	ds_store_b32 v28, v16
	ds_store_b32 v27, v25
	v_pack_b32_f16 v16, v53, v34
	v_and_b32_e32 v3, 1, v2
	v_fma_f16 v44, v44, 2.0, -v41
	v_pack_b32_f16 v25, v54, v35
	v_pack_b32_f16 v27, v55, v33
	ds_store_2addr_b32 v22, v9, v16 offset0:28 offset1:236
	v_pack_b32_f16 v9, v12, v29
	v_mul_u32_u24_e32 v12, 12, v3
	v_pack_b32_f16 v28, v57, v31
	v_pack_b32_f16 v30, v58, v32
	;; [unrolled: 1-line block ×4, first 2 shown]
	ds_store_2addr_b32 v21, v25, v27 offset0:160 offset1:212
	ds_store_2addr_b32 v20, v28, v30 offset0:8 offset1:60
	ds_store_b32 v18, v26
	ds_store_b32 v19, v15
	ds_store_b32 v60, v9 offset:2496
	v_lshlrev_b32_e32 v9, 2, v12
	global_wb scope:SCOPE_SE
	s_wait_dscnt 0x0
	s_barrier_signal -1
	s_barrier_wait -1
	global_inv scope:SCOPE_SE
	s_clause 0x2
	global_load_b128 v[49:52], v9, s[4:5]
	global_load_b128 v[53:56], v9, s[4:5] offset:16
	global_load_b128 v[57:60], v9, s[4:5] offset:32
	ds_load_u16 v21, v8
	ds_load_u16 v12, v8 offset:832
	ds_load_u16 v18, v8 offset:1664
	;; [unrolled: 1-line block ×25, first 2 shown]
	v_cmp_gt_u32_e64 s0, 26, v2
	global_wb scope:SCOPE_SE
	s_wait_loadcnt_dscnt 0x0
	s_barrier_signal -1
	s_barrier_wait -1
	global_inv scope:SCOPE_SE
	v_lshrrev_b32_e32 v9, 16, v49
	v_lshrrev_b32_e32 v15, 16, v50
	;; [unrolled: 1-line block ×5, first 2 shown]
	v_mul_f16_e32 v96, v16, v9
	v_mul_f16_e32 v97, v11, v9
	v_lshrrev_b32_e32 v93, 16, v58
	v_lshrrev_b32_e32 v95, 16, v60
	v_mul_f16_e32 v98, v27, v15
	v_mul_f16_e32 v99, v62, v15
	;; [unrolled: 1-line block ×9, first 2 shown]
	v_fma_f16 v96, v11, v49, -v96
	v_fmac_f16_e32 v97, v16, v49
	v_lshrrev_b32_e32 v31, 16, v53
	v_lshrrev_b32_e32 v42, 16, v54
	;; [unrolled: 1-line block ×4, first 2 shown]
	v_mul_f16_e32 v101, v12, v22
	v_mul_f16_e32 v41, v13, v22
	;; [unrolled: 1-line block ×10, first 2 shown]
	v_fma_f16 v62, v62, v50, -v98
	v_mul_f16_e32 v98, v87, v92
	v_mul_f16_e32 v22, v75, v92
	v_fmac_f16_e32 v99, v27, v50
	v_mul_f16_e32 v92, v85, v93
	v_mul_f16_e32 v27, v73, v93
	v_fma_f16 v93, v47, v51, -v100
	v_fmac_f16_e32 v46, v28, v51
	v_fmac_f16_e32 v37, v33, v49
	v_fma_f16 v33, v61, v50, -v114
	v_fmac_f16_e32 v30, v29, v50
	v_fma_f16 v28, v24, v51, -v115
	v_fmac_f16_e32 v25, v19, v51
	v_add_f16_e32 v50, v14, v96
	v_add_f16_e32 v51, v21, v97
	v_lshrrev_b32_e32 v48, 16, v56
	v_mul_f16_e32 v102, v38, v31
	v_mul_f16_e32 v32, v67, v42
	;; [unrolled: 1-line block ×8, first 2 shown]
	v_fmac_f16_e32 v112, v90, v60
	v_add_f16_e32 v50, v50, v62
	v_add_f16_e32 v51, v51, v99
	v_mul_f16_e32 v35, v69, v31
	v_mul_f16_e32 v103, v39, v42
	;; [unrolled: 1-line block ×15, first 2 shown]
	v_fma_f16 v48, v13, v52, -v101
	v_fmac_f16_e32 v41, v12, v52
	v_fma_f16 v42, v69, v53, -v102
	v_fmac_f16_e32 v32, v39, v54
	;; [unrolled: 2-line block ×3, first 2 shown]
	v_fma_f16 v69, v72, v59, -v109
	v_fma_f16 v72, v78, v60, -v111
	;; [unrolled: 1-line block ×3, first 2 shown]
	v_fmac_f16_e32 v11, v36, v55
	v_sub_f16_e32 v55, v97, v112
	v_add_f16_e32 v50, v50, v93
	v_add_f16_e32 v51, v51, v46
	v_fmac_f16_e32 v35, v38, v53
	v_fma_f16 v38, v67, v54, -v103
	v_fma_f16 v44, v23, v56, -v105
	v_fmac_f16_e32 v40, v18, v56
	v_fma_f16 v67, v74, v58, -v107
	v_fmac_f16_e32 v108, v86, v58
	v_fma_f16 v47, v63, v49, -v113
	v_fma_f16 v23, v70, v52, -v116
	v_fmac_f16_e32 v20, v82, v52
	v_fma_f16 v18, v68, v53, -v117
	;; [unrolled: 3-line block ×3, first 2 shown]
	v_fmac_f16_e32 v27, v85, v58
	v_fma_f16 v36, v71, v59, -v100
	v_fma_f16 v49, v79, v60, -v94
	v_fmac_f16_e32 v43, v91, v60
	v_add_f16_e32 v52, v96, v72
	v_add_f16_e32 v56, v62, v69
	v_sub_f16_e32 v58, v62, v69
	v_mul_f16_e32 v60, 0xb770, v55
	v_mul_f16_e32 v62, 0xba95, v55
	;; [unrolled: 1-line block ×6, first 2 shown]
	v_add_f16_e32 v50, v50, v48
	v_add_f16_e32 v51, v51, v41
	v_fmac_f16_e32 v15, v81, v53
	v_fmac_f16_e32 v22, v87, v57
	;; [unrolled: 1-line block ×3, first 2 shown]
	v_fma_f16 v79, v52, 0x3b15, -v60
	v_fmac_f16_e32 v60, 0x3b15, v52
	v_fma_f16 v81, v52, 0x388b, -v62
	v_fmac_f16_e32 v62, 0x388b, v52
	;; [unrolled: 2-line block ×6, first 2 shown]
	v_add_f16_e32 v50, v50, v42
	v_add_f16_e32 v51, v51, v35
	;; [unrolled: 1-line block ×16, first 2 shown]
	v_fmac_f16_e32 v110, v84, v59
	v_fma_f16 v12, v66, v54, -v118
	v_fmac_f16_e32 v9, v80, v54
	v_sub_f16_e32 v54, v96, v72
	v_add_f16_e32 v14, v14, v39
	v_add_f16_e32 v50, v50, v34
	v_fma_f16 v65, v76, v57, -v106
	v_fmac_f16_e32 v45, v88, v57
	v_add_f16_e32 v53, v97, v112
	v_sub_f16_e32 v59, v99, v110
	v_mul_f16_e32 v61, 0xb770, v54
	v_mul_f16_e32 v63, 0xba95, v54
	;; [unrolled: 1-line block ×6, first 2 shown]
	v_add_f16_e32 v14, v14, v44
	v_add_f16_e32 v50, v50, v40
	v_mul_f16_e32 v74, 0xba95, v59
	v_fmamk_f16 v80, v53, 0x3b15, v61
	v_fma_f16 v61, v53, 0x3b15, -v61
	v_fmamk_f16 v82, v53, 0x388b, v63
	v_fma_f16 v63, v53, 0x388b, -v63
	;; [unrolled: 2-line block ×6, first 2 shown]
	v_add_f16_e32 v14, v14, v65
	v_add_f16_e32 v50, v50, v45
	v_fma_f16 v24, v75, v57, -v98
	v_add_f16_e32 v57, v99, v110
	v_mul_f16_e32 v75, 0xba95, v58
	v_fma_f16 v54, v56, 0x388b, -v74
	v_fmac_f16_e32 v74, 0x388b, v56
	v_add_f16_e32 v51, v21, v80
	v_add_f16_e32 v61, v21, v61
	;; [unrolled: 1-line block ×14, first 2 shown]
	v_mul_f16_e32 v76, 0xbb7b, v59
	v_mul_f16_e32 v77, 0xbb7b, v58
	v_fmamk_f16 v90, v57, 0x388b, v75
	v_fma_f16 v75, v57, 0x388b, -v75
	v_add_f16_e32 v50, v54, v79
	v_add_f16_e32 v54, v74, v60
	;; [unrolled: 1-line block ×4, first 2 shown]
	v_fma_f16 v91, v56, 0xb5ac, -v76
	v_fmamk_f16 v92, v57, 0xb5ac, v77
	v_fmac_f16_e32 v76, 0xb5ac, v56
	v_fma_f16 v77, v57, 0xb5ac, -v77
	v_add_f16_e32 v61, v75, v61
	v_add_f16_e32 v21, v14, v72
	;; [unrolled: 1-line block ×3, first 2 shown]
	v_mul_f16_e32 v60, 0xb3a8, v58
	v_mul_f16_e32 v75, 0x394e, v59
	v_mul_f16_e32 v78, 0xb3a8, v59
	v_add_f16_e32 v62, v76, v62
	v_add_f16_e32 v63, v77, v63
	v_fmamk_f16 v76, v57, 0xbbc4, v60
	v_fma_f16 v60, v57, 0xbbc4, -v60
	v_fma_f16 v77, v56, 0xb9fd, -v75
	;; [unrolled: 1-line block ×3, first 2 shown]
	v_fmac_f16_e32 v78, 0xbbc4, v56
	v_mul_f16_e32 v79, 0x394e, v58
	v_add_f16_e32 v60, v60, v66
	v_add_f16_e32 v66, v77, v85
	v_mul_f16_e32 v77, 0x3bf1, v59
	v_add_f16_e32 v69, v91, v81
	v_add_f16_e32 v74, v92, v80
	;; [unrolled: 1-line block ×3, first 2 shown]
	v_fmamk_f16 v78, v57, 0xb9fd, v79
	v_fmac_f16_e32 v75, 0xb9fd, v56
	v_mul_f16_e32 v80, 0x3bf1, v58
	v_fma_f16 v79, v57, 0xb9fd, -v79
	v_fma_f16 v81, v56, 0x2fb7, -v77
	v_mul_f16_e32 v59, 0x3770, v59
	v_fmac_f16_e32 v77, 0x2fb7, v56
	v_add_f16_e32 v68, v75, v68
	v_fmamk_f16 v75, v57, 0x2fb7, v80
	v_add_f16_e32 v70, v79, v70
	v_add_f16_e32 v79, v81, v87
	v_mul_f16_e32 v58, 0x3770, v58
	v_fma_f16 v80, v57, 0x2fb7, -v80
	v_fma_f16 v81, v56, 0x3b15, -v59
	v_add_f16_e32 v71, v77, v71
	v_sub_f16_e32 v77, v46, v108
	v_add_f16_e32 v72, v72, v83
	v_add_f16_e32 v73, v80, v73
	;; [unrolled: 1-line block ×4, first 2 shown]
	v_mul_f16_e32 v83, 0xbbf1, v77
	v_sub_f16_e32 v67, v93, v67
	v_fmac_f16_e32 v59, 0x3b15, v56
	v_fma_f16 v56, v57, 0x3b15, -v58
	v_add_f16_e32 v76, v76, v82
	v_fmamk_f16 v82, v57, 0x3b15, v58
	v_fma_f16 v57, v81, 0x2fb7, -v83
	v_add_f16_e32 v46, v46, v108
	v_mul_f16_e32 v58, 0xbbf1, v67
	v_add_f16_e32 v53, v56, v53
	v_mul_f16_e32 v56, 0xb3a8, v77
	v_add_f16_e32 v51, v90, v51
	v_add_f16_e32 v52, v82, v52
	;; [unrolled: 1-line block ×4, first 2 shown]
	v_fmamk_f16 v57, v46, 0x2fb7, v58
	v_fma_f16 v58, v46, 0x2fb7, -v58
	v_mul_f16_e32 v59, 0xb3a8, v67
	v_fma_f16 v82, v81, 0xbbc4, -v56
	v_fmac_f16_e32 v56, 0xbbc4, v81
	v_add_f16_e32 v51, v57, v51
	v_add_f16_e32 v57, v58, v61
	v_fmamk_f16 v58, v46, 0xbbc4, v59
	v_add_f16_e32 v61, v82, v69
	v_mul_f16_e32 v69, 0x3b7b, v77
	v_fma_f16 v59, v46, 0xbbc4, -v59
	v_add_f16_e32 v56, v56, v62
	v_add_f16_e32 v58, v58, v74
	v_mul_f16_e32 v74, 0x3b7b, v67
	v_fma_f16 v82, v81, 0xb5ac, -v69
	v_mul_f16_e32 v62, 0x3770, v77
	v_add_f16_e32 v59, v59, v63
	v_fmac_f16_e32 v69, 0xb5ac, v81
	v_fmamk_f16 v63, v46, 0xb5ac, v74
	v_add_f16_e32 v72, v82, v72
	v_fma_f16 v82, v81, 0x3b15, -v62
	v_fmac_f16_e32 v83, 0x2fb7, v81
	v_fma_f16 v74, v46, 0xb5ac, -v74
	v_add_f16_e32 v63, v63, v76
	v_mul_f16_e32 v76, 0x3770, v67
	v_add_f16_e32 v64, v69, v64
	v_add_f16_e32 v66, v82, v66
	v_mul_f16_e32 v69, 0xba95, v77
	v_fmac_f16_e32 v62, 0x3b15, v81
	v_mul_f16_e32 v82, 0xba95, v67
	v_add_f16_e32 v78, v78, v84
	v_add_f16_e32 v75, v75, v86
	;; [unrolled: 1-line block ×4, first 2 shown]
	v_fmamk_f16 v74, v46, 0x3b15, v76
	v_fma_f16 v83, v81, 0x388b, -v69
	v_add_f16_e32 v62, v62, v68
	v_fmamk_f16 v68, v46, 0x388b, v82
	v_mul_f16_e32 v77, 0xb94e, v77
	v_fmac_f16_e32 v69, 0x388b, v81
	v_add_f16_e32 v74, v74, v78
	v_fma_f16 v76, v46, 0x3b15, -v76
	v_add_f16_e32 v68, v68, v75
	v_fma_f16 v75, v46, 0x388b, -v82
	v_fma_f16 v78, v81, 0xb9fd, -v77
	v_add_f16_e32 v69, v69, v71
	v_sub_f16_e32 v71, v41, v45
	v_mul_f16_e32 v67, 0xb94e, v67
	v_add_f16_e32 v73, v75, v73
	v_add_f16_e32 v75, v78, v80
	;; [unrolled: 1-line block ×3, first 2 shown]
	v_mul_f16_e32 v80, 0xbb7b, v71
	v_sub_f16_e32 v48, v48, v65
	v_add_f16_e32 v70, v76, v70
	v_add_f16_e32 v76, v83, v79
	v_fmamk_f16 v79, v46, 0xb9fd, v67
	v_fma_f16 v46, v46, 0xb9fd, -v67
	v_fma_f16 v65, v78, 0xb5ac, -v80
	v_add_f16_e32 v41, v41, v45
	v_mul_f16_e32 v45, 0xbb7b, v48
	v_fmac_f16_e32 v77, 0xb9fd, v81
	v_add_f16_e32 v46, v46, v53
	v_add_f16_e32 v50, v65, v50
	v_mul_f16_e32 v53, 0x394e, v71
	v_fmamk_f16 v65, v41, 0xb5ac, v45
	v_fma_f16 v45, v41, 0xb5ac, -v45
	v_mul_f16_e32 v67, 0x394e, v48
	v_add_f16_e32 v55, v77, v55
	v_fma_f16 v77, v78, 0xb9fd, -v53
	v_add_f16_e32 v51, v65, v51
	v_add_f16_e32 v45, v45, v57
	v_fmamk_f16 v57, v41, 0xb9fd, v67
	v_mul_f16_e32 v65, 0x3770, v71
	v_fmac_f16_e32 v53, 0xb9fd, v78
	v_fma_f16 v67, v41, 0xb9fd, -v67
	v_add_f16_e32 v61, v77, v61
	v_add_f16_e32 v57, v57, v58
	v_mul_f16_e32 v58, 0x3770, v48
	v_fma_f16 v77, v78, 0x3b15, -v65
	v_add_f16_e32 v53, v53, v56
	v_add_f16_e32 v56, v67, v59
	v_mul_f16_e32 v59, 0xbbf1, v71
	v_fmamk_f16 v67, v41, 0x3b15, v58
	v_add_f16_e32 v72, v77, v72
	v_fmac_f16_e32 v65, 0x3b15, v78
	v_fma_f16 v58, v41, 0x3b15, -v58
	v_fma_f16 v77, v78, 0x2fb7, -v59
	v_add_f16_e32 v63, v67, v63
	v_mul_f16_e32 v67, 0xbbf1, v48
	v_add_f16_e32 v64, v65, v64
	v_add_f16_e32 v58, v58, v60
	;; [unrolled: 1-line block ×3, first 2 shown]
	v_mul_f16_e32 v65, 0x33a8, v71
	v_fmac_f16_e32 v59, 0x2fb7, v78
	v_mul_f16_e32 v77, 0x33a8, v48
	v_add_f16_e32 v52, v79, v52
	v_fmamk_f16 v66, v41, 0x2fb7, v67
	v_fma_f16 v79, v78, 0xbbc4, -v65
	v_add_f16_e32 v59, v59, v62
	v_fmamk_f16 v62, v41, 0xbbc4, v77
	v_mul_f16_e32 v71, 0x3a95, v71
	v_fmac_f16_e32 v65, 0xbbc4, v78
	v_add_f16_e32 v66, v66, v74
	v_fma_f16 v67, v41, 0x2fb7, -v67
	v_add_f16_e32 v62, v62, v68
	v_fma_f16 v68, v41, 0xbbc4, -v77
	v_fma_f16 v74, v78, 0x388b, -v71
	v_add_f16_e32 v65, v65, v69
	v_sub_f16_e32 v69, v35, v40
	v_mul_f16_e32 v48, 0x3a95, v48
	v_add_f16_e32 v68, v68, v73
	v_add_f16_e32 v73, v74, v75
	;; [unrolled: 1-line block ×3, first 2 shown]
	v_mul_f16_e32 v75, 0xb94e, v69
	v_sub_f16_e32 v42, v42, v44
	v_fmac_f16_e32 v71, 0x388b, v78
	v_add_f16_e32 v35, v35, v40
	v_add_f16_e32 v67, v67, v70
	v_fma_f16 v44, v74, 0xb9fd, -v75
	v_mul_f16_e32 v40, 0xb94e, v42
	v_add_f16_e32 v70, v79, v76
	v_fmamk_f16 v76, v41, 0x388b, v48
	v_fma_f16 v41, v41, 0x388b, -v48
	v_add_f16_e32 v48, v71, v55
	v_add_f16_e32 v44, v44, v50
	v_fmamk_f16 v50, v35, 0xb9fd, v40
	v_fma_f16 v40, v35, 0xb9fd, -v40
	v_mul_f16_e32 v55, 0x3bf1, v42
	v_add_f16_e32 v41, v41, v46
	v_mul_f16_e32 v46, 0x3bf1, v69
	v_add_f16_e32 v50, v50, v51
	v_add_f16_e32 v40, v40, v45
	v_fmamk_f16 v45, v35, 0x2fb7, v55
	v_mul_f16_e32 v51, 0xba95, v69
	v_fma_f16 v71, v74, 0x2fb7, -v46
	v_fmac_f16_e32 v46, 0x2fb7, v74
	v_fma_f16 v55, v35, 0x2fb7, -v55
	v_add_f16_e32 v45, v45, v57
	v_mul_f16_e32 v57, 0xba95, v42
	v_add_f16_e32 v61, v71, v61
	v_fma_f16 v71, v74, 0x388b, -v51
	v_add_f16_e32 v46, v46, v53
	v_add_f16_e32 v55, v55, v56
	v_mul_f16_e32 v53, 0x33a8, v69
	v_fmamk_f16 v56, v35, 0x388b, v57
	v_fmac_f16_e32 v80, 0xb5ac, v78
	v_add_f16_e32 v71, v71, v72
	v_fmac_f16_e32 v51, 0x388b, v74
	v_fma_f16 v57, v35, 0x388b, -v57
	v_fma_f16 v72, v74, 0xbbc4, -v53
	v_add_f16_e32 v56, v56, v63
	v_mul_f16_e32 v63, 0x33a8, v42
	v_add_f16_e32 v54, v80, v54
	v_fmac_f16_e32 v75, 0xb9fd, v74
	v_add_f16_e32 v64, v51, v64
	v_add_f16_e32 v57, v57, v58
	;; [unrolled: 1-line block ×3, first 2 shown]
	v_mul_f16_e32 v51, 0x3770, v69
	v_fmamk_f16 v60, v35, 0xbbc4, v63
	v_fmac_f16_e32 v53, 0xbbc4, v74
	v_fma_f16 v63, v35, 0xbbc4, -v63
	v_mul_f16_e32 v72, 0x3770, v42
	v_add_f16_e32 v54, v75, v54
	v_fma_f16 v75, v74, 0x3b15, -v51
	v_add_f16_e32 v59, v53, v59
	v_add_f16_e32 v63, v63, v67
	v_fmamk_f16 v53, v35, 0x3b15, v72
	v_mul_f16_e32 v67, 0xbb7b, v69
	v_mul_f16_e32 v42, 0xbb7b, v42
	v_add_f16_e32 v52, v76, v52
	v_add_f16_e32 v60, v60, v66
	;; [unrolled: 1-line block ×4, first 2 shown]
	v_fma_f16 v53, v35, 0x3b15, -v72
	v_fma_f16 v69, v74, 0xb5ac, -v67
	v_fmamk_f16 v70, v35, 0xb5ac, v42
	v_sub_f16_e32 v72, v32, v34
	v_sub_f16_e32 v75, v38, v39
	v_fmac_f16_e32 v67, 0xb5ac, v74
	v_add_f16_e32 v69, v69, v73
	v_add_f16_e32 v70, v70, v52
	v_add_f16_e32 v73, v38, v39
	v_mul_f16_e32 v52, 0xb3a8, v72
	v_fma_f16 v35, v35, 0xb5ac, -v42
	v_fmac_f16_e32 v51, 0x3b15, v74
	v_add_f16_e32 v74, v32, v34
	v_mul_f16_e32 v34, 0xb3a8, v75
	v_fma_f16 v32, v73, 0xbbc4, -v52
	v_add_f16_e32 v48, v67, v48
	v_add_f16_e32 v67, v35, v41
	v_mul_f16_e32 v35, 0x3770, v72
	v_add_f16_e32 v65, v51, v65
	v_add_f16_e32 v51, v32, v44
	v_fmamk_f16 v32, v74, 0xbbc4, v34
	v_fmac_f16_e32 v52, 0xbbc4, v73
	v_fma_f16 v39, v73, 0x3b15, -v35
	v_fma_f16 v38, v74, 0xbbc4, -v34
	v_mul_f16_e32 v41, 0x3770, v75
	v_add_f16_e32 v34, v32, v50
	v_add_f16_e32 v50, v52, v54
	;; [unrolled: 1-line block ×3, first 2 shown]
	v_mul_f16_e32 v39, 0xb94e, v72
	v_add_f16_e32 v32, v38, v40
	v_fmamk_f16 v38, v74, 0x3b15, v41
	v_fmac_f16_e32 v35, 0x3b15, v73
	v_fma_f16 v40, v74, 0x3b15, -v41
	v_mul_f16_e32 v41, 0xb94e, v75
	v_fma_f16 v42, v73, 0xb9fd, -v39
	v_add_f16_e32 v68, v53, v68
	v_add_f16_e32 v38, v38, v45
	;; [unrolled: 1-line block ×4, first 2 shown]
	v_fmamk_f16 v40, v74, 0xb9fd, v41
	v_fmac_f16_e32 v39, 0xb9fd, v73
	v_add_f16_e32 v55, v42, v71
	v_fma_f16 v41, v74, 0xb9fd, -v41
	v_mul_f16_e32 v42, 0x3a95, v72
	v_mul_f16_e32 v44, 0x3a95, v75
	v_add_f16_e32 v45, v17, v47
	v_add_f16_e32 v46, v26, v37
	v_add_f16_e32 v40, v40, v56
	v_add_f16_e32 v54, v39, v64
	v_add_f16_e32 v39, v41, v57
	v_fma_f16 v41, v73, 0x388b, -v42
	v_fmamk_f16 v56, v74, 0x388b, v44
	v_fmac_f16_e32 v42, 0x388b, v73
	v_add_f16_e32 v45, v45, v33
	v_add_f16_e32 v46, v46, v30
	;; [unrolled: 1-line block ×5, first 2 shown]
	v_fma_f16 v42, v74, 0x388b, -v44
	v_add_f16_e32 v44, v45, v28
	v_add_f16_e32 v45, v46, v25
	v_mul_f16_e32 v46, 0xbb7b, v72
	v_mul_f16_e32 v60, 0xbb7b, v75
	v_add_f16_e32 v42, v42, v63
	v_add_f16_e32 v44, v44, v23
	;; [unrolled: 1-line block ×3, first 2 shown]
	v_fma_f16 v58, v73, 0xb5ac, -v46
	v_fmac_f16_e32 v46, 0xb5ac, v73
	v_fmamk_f16 v61, v74, 0xb5ac, v60
	v_add_f16_e32 v63, v44, v18
	v_add_f16_e32 v45, v45, v15
	;; [unrolled: 1-line block ×7, first 2 shown]
	v_fma_f16 v60, v74, 0xb5ac, -v60
	v_mul_f16_e32 v61, 0x3bf1, v72
	v_mul_f16_e32 v62, 0x3bf1, v75
	v_add_f16_e32 v46, v46, v13
	v_add_f16_e32 v63, v45, v11
	;; [unrolled: 1-line block ×3, first 2 shown]
	v_fma_f16 v60, v73, 0x2fb7, -v61
	v_fmamk_f16 v64, v74, 0x2fb7, v62
	v_add_f16_e32 v65, v46, v19
	v_add_f16_e32 v63, v63, v16
	v_fmac_f16_e32 v61, 0x2fb7, v73
	v_add_f16_e32 v60, v60, v69
	v_add_f16_e32 v46, v64, v70
	;; [unrolled: 1-line block ×5, first 2 shown]
	v_sub_f16_e32 v65, v37, v43
	v_fma_f16 v48, v74, 0x2fb7, -v62
	v_add_f16_e32 v62, v64, v29
	v_add_f16_e32 v63, v63, v27
	;; [unrolled: 1-line block ×3, first 2 shown]
	v_mul_f16_e32 v66, 0xb770, v65
	v_add_f16_e32 v48, v48, v67
	v_sub_f16_e32 v67, v47, v49
	v_add_f16_e32 v47, v62, v36
	v_add_f16_e32 v62, v63, v31
	v_fma_f16 v63, v64, 0x3b15, -v66
	v_add_f16_e32 v68, v37, v43
	v_mul_f16_e32 v69, 0xb770, v67
	v_sub_f16_e32 v85, v30, v31
	v_add_f16_e32 v47, v47, v49
	v_add_f16_e32 v37, v62, v43
	;; [unrolled: 1-line block ×3, first 2 shown]
	v_mul_f16_e32 v49, 0xba95, v65
	v_fmamk_f16 v62, v68, 0x3b15, v69
	v_fma_f16 v63, v68, 0x3b15, -v69
	v_mul_f16_e32 v69, 0xba95, v67
	v_mul_f16_e32 v72, 0xbbf1, v65
	v_mul_f16_e32 v73, 0xbbf1, v67
	v_mul_f16_e32 v75, 0xbb7b, v65
	v_mul_f16_e32 v78, 0xbb7b, v67
	v_mul_f16_e32 v79, 0xb94e, v65
	v_mul_f16_e32 v81, 0xb94e, v67
	v_mul_f16_e32 v65, 0xb3a8, v65
	v_mul_f16_e32 v67, 0xb3a8, v67
	v_add_f16_e32 v87, v33, v36
	v_mul_f16_e32 v88, 0xba95, v85
	v_fmac_f16_e32 v66, 0x3b15, v64
	v_fma_f16 v70, v64, 0x388b, -v49
	v_fmamk_f16 v71, v68, 0x388b, v69
	v_fmac_f16_e32 v49, 0x388b, v64
	v_fma_f16 v69, v68, 0x388b, -v69
	v_fma_f16 v74, v64, 0x2fb7, -v72
	v_fmamk_f16 v76, v68, 0x2fb7, v73
	v_fmac_f16_e32 v72, 0x2fb7, v64
	v_fma_f16 v73, v68, 0x2fb7, -v73
	;; [unrolled: 4-line block ×4, first 2 shown]
	v_fma_f16 v84, v64, 0xbbc4, -v65
	v_fmamk_f16 v86, v68, 0xbbc4, v67
	v_sub_f16_e32 v33, v33, v36
	v_fmac_f16_e32 v65, 0xbbc4, v64
	v_fma_f16 v36, v68, 0xbbc4, -v67
	v_fma_f16 v64, v87, 0x388b, -v88
	v_add_f16_e32 v62, v26, v62
	v_add_f16_e32 v63, v26, v63
	;; [unrolled: 1-line block ×12, first 2 shown]
	v_mul_f16_e32 v31, 0xba95, v33
	v_add_f16_e32 v26, v26, v36
	v_add_f16_e32 v36, v64, v43
	v_mul_f16_e32 v43, 0xbb7b, v85
	v_add_f16_e32 v66, v17, v66
	v_add_f16_e32 v70, v17, v70
	;; [unrolled: 1-line block ×11, first 2 shown]
	v_fmamk_f16 v64, v30, 0x388b, v31
	v_fmac_f16_e32 v88, 0x388b, v87
	v_fma_f16 v31, v30, 0x388b, -v31
	v_mul_f16_e32 v65, 0xbb7b, v33
	v_fma_f16 v67, v87, 0xb5ac, -v43
	v_add_f16_e32 v62, v64, v62
	v_add_f16_e32 v64, v88, v66
	;; [unrolled: 1-line block ×3, first 2 shown]
	v_fmamk_f16 v63, v30, 0xb5ac, v65
	v_add_f16_e32 v66, v67, v70
	v_mul_f16_e32 v67, 0xb3a8, v85
	v_fmac_f16_e32 v43, 0xb5ac, v87
	v_fma_f16 v65, v30, 0xb5ac, -v65
	v_mul_f16_e32 v68, 0xb3a8, v33
	v_add_f16_e32 v63, v63, v71
	v_fma_f16 v70, v87, 0xbbc4, -v67
	v_add_f16_e32 v43, v43, v49
	v_add_f16_e32 v49, v65, v69
	v_mul_f16_e32 v65, 0x394e, v85
	v_fmac_f16_e32 v67, 0xbbc4, v87
	v_fmamk_f16 v69, v30, 0xbbc4, v68
	v_add_f16_e32 v70, v70, v74
	v_fma_f16 v68, v30, 0xbbc4, -v68
	v_fma_f16 v71, v87, 0xb9fd, -v65
	v_add_f16_e32 v67, v67, v72
	v_mul_f16_e32 v72, 0x3bf1, v85
	v_add_f16_e32 v69, v69, v76
	v_fmac_f16_e32 v65, 0xb9fd, v87
	v_add_f16_e32 v71, v71, v77
	v_mul_f16_e32 v76, 0x3bf1, v33
	v_fma_f16 v77, v87, 0x2fb7, -v72
	v_fmac_f16_e32 v72, 0x2fb7, v87
	v_mul_f16_e32 v74, 0x394e, v33
	v_add_f16_e32 v65, v65, v75
	v_fmamk_f16 v75, v30, 0x2fb7, v76
	v_fma_f16 v76, v30, 0x2fb7, -v76
	v_add_f16_e32 v72, v72, v79
	v_sub_f16_e32 v79, v25, v27
	v_add_f16_e32 v68, v68, v73
	v_fmamk_f16 v73, v30, 0xb9fd, v74
	v_fma_f16 v74, v30, 0xb9fd, -v74
	v_add_f16_e32 v75, v75, v83
	v_mul_f16_e32 v33, 0x3770, v33
	v_add_f16_e32 v76, v76, v81
	v_add_f16_e32 v81, v28, v29
	v_mul_f16_e32 v83, 0xbbf1, v79
	v_sub_f16_e32 v28, v28, v29
	v_add_f16_e32 v74, v74, v78
	v_add_f16_e32 v77, v77, v82
	v_mul_f16_e32 v78, 0x3770, v85
	v_fmamk_f16 v82, v30, 0x3b15, v33
	v_fma_f16 v29, v30, 0x3b15, -v33
	v_fma_f16 v30, v81, 0x2fb7, -v83
	v_add_f16_e32 v25, v25, v27
	v_mul_f16_e32 v27, 0xbbf1, v28
	v_add_f16_e32 v73, v73, v80
	v_fma_f16 v80, v87, 0x3b15, -v78
	v_fmac_f16_e32 v78, 0x3b15, v87
	v_add_f16_e32 v26, v29, v26
	v_add_f16_e32 v29, v30, v36
	v_mul_f16_e32 v30, 0xb3a8, v79
	v_fmamk_f16 v33, v25, 0x2fb7, v27
	v_fma_f16 v27, v25, 0x2fb7, -v27
	v_mul_f16_e32 v36, 0xb3a8, v28
	v_add_f16_e32 v17, v78, v17
	v_fmac_f16_e32 v83, 0x2fb7, v81
	v_fma_f16 v78, v81, 0xbbc4, -v30
	v_add_f16_e32 v27, v27, v31
	v_fmamk_f16 v31, v25, 0xbbc4, v36
	v_add_f16_e32 v33, v33, v62
	v_add_f16_e32 v62, v83, v64
	;; [unrolled: 1-line block ×3, first 2 shown]
	v_mul_f16_e32 v66, 0x3b7b, v79
	v_fmac_f16_e32 v30, 0xbbc4, v81
	v_fma_f16 v36, v25, 0xbbc4, -v36
	v_add_f16_e32 v31, v31, v63
	v_mul_f16_e32 v63, 0x3b7b, v28
	v_fma_f16 v78, v81, 0xb5ac, -v66
	v_add_f16_e32 v30, v30, v43
	v_add_f16_e32 v36, v36, v49
	v_mul_f16_e32 v43, 0x3770, v79
	v_fmamk_f16 v49, v25, 0xb5ac, v63
	v_add_f16_e32 v70, v78, v70
	v_fmac_f16_e32 v66, 0xb5ac, v81
	v_fma_f16 v63, v25, 0xb5ac, -v63
	v_fma_f16 v78, v81, 0x3b15, -v43
	v_add_f16_e32 v49, v49, v69
	v_mul_f16_e32 v69, 0x3770, v28
	v_add_f16_e32 v66, v66, v67
	v_add_f16_e32 v63, v63, v68
	;; [unrolled: 1-line block ×3, first 2 shown]
	v_mul_f16_e32 v68, 0xba95, v79
	v_fmamk_f16 v71, v25, 0x3b15, v69
	v_fmac_f16_e32 v43, 0x3b15, v81
	v_mul_f16_e32 v78, 0xba95, v28
	v_fma_f16 v69, v25, 0x3b15, -v69
	v_fma_f16 v83, v81, 0x388b, -v68
	v_fmac_f16_e32 v68, 0x388b, v81
	v_add_f16_e32 v43, v43, v65
	v_fmamk_f16 v65, v25, 0x388b, v78
	v_add_f16_e32 v69, v69, v74
	v_mul_f16_e32 v74, 0xb94e, v79
	v_add_f16_e32 v80, v80, v84
	v_add_f16_e32 v71, v71, v73
	;; [unrolled: 1-line block ×4, first 2 shown]
	v_mul_f16_e32 v28, 0xb94e, v28
	v_fma_f16 v75, v25, 0x388b, -v78
	v_fma_f16 v77, v81, 0xb9fd, -v74
	v_add_f16_e32 v68, v68, v72
	v_sub_f16_e32 v72, v20, v22
	v_fmamk_f16 v78, v25, 0xb9fd, v28
	v_add_f16_e32 v75, v75, v76
	v_add_f16_e32 v76, v77, v80
	;; [unrolled: 1-line block ×3, first 2 shown]
	v_mul_f16_e32 v79, 0xbb7b, v72
	v_sub_f16_e32 v23, v23, v24
	v_fma_f16 v24, v25, 0xb9fd, -v28
	v_fmac_f16_e32 v74, 0xb9fd, v81
	v_add_f16_e32 v20, v20, v22
	v_fma_f16 v25, v77, 0xb5ac, -v79
	v_mul_f16_e32 v22, 0xbb7b, v23
	v_add_f16_e32 v24, v24, v26
	v_mul_f16_e32 v26, 0x394e, v72
	v_add_f16_e32 v17, v74, v17
	v_add_f16_e32 v25, v25, v29
	v_fmamk_f16 v28, v20, 0xb5ac, v22
	v_fmac_f16_e32 v79, 0xb5ac, v77
	v_fma_f16 v22, v20, 0xb5ac, -v22
	v_mul_f16_e32 v29, 0x394e, v23
	v_fma_f16 v74, v77, 0xb9fd, -v26
	v_add_f16_e32 v28, v28, v33
	v_add_f16_e32 v33, v79, v62
	;; [unrolled: 1-line block ×3, first 2 shown]
	v_fmamk_f16 v27, v20, 0xb9fd, v29
	v_add_f16_e32 v62, v74, v64
	v_mul_f16_e32 v64, 0x3770, v72
	v_fmac_f16_e32 v26, 0xb9fd, v77
	v_fma_f16 v29, v20, 0xb9fd, -v29
	v_add_f16_e32 v27, v27, v31
	v_mul_f16_e32 v31, 0x3770, v23
	v_fma_f16 v74, v77, 0x3b15, -v64
	v_add_f16_e32 v26, v26, v30
	v_mul_f16_e32 v30, 0xbbf1, v72
	v_add_f16_e32 v29, v29, v36
	v_fmamk_f16 v36, v20, 0x3b15, v31
	v_add_f16_e32 v70, v74, v70
	v_fmac_f16_e32 v64, 0x3b15, v77
	v_fma_f16 v31, v20, 0x3b15, -v31
	v_fma_f16 v74, v77, 0x2fb7, -v30
	v_fmac_f16_e32 v30, 0x2fb7, v77
	v_add_f16_e32 v36, v36, v49
	v_add_f16_e32 v64, v64, v66
	;; [unrolled: 1-line block ×4, first 2 shown]
	v_mul_f16_e32 v66, 0x33a8, v72
	v_mul_f16_e32 v74, 0x33a8, v23
	v_add_f16_e32 v30, v30, v43
	v_mul_f16_e32 v49, 0xbbf1, v23
	v_mul_f16_e32 v23, 0x3a95, v23
	v_fma_f16 v79, v77, 0xbbc4, -v66
	v_fmamk_f16 v43, v20, 0xbbc4, v74
	v_fmac_f16_e32 v66, 0xbbc4, v77
	v_fmamk_f16 v67, v20, 0x2fb7, v49
	v_fma_f16 v49, v20, 0x2fb7, -v49
	v_add_f16_e32 v82, v82, v86
	v_add_f16_e32 v43, v43, v65
	v_fma_f16 v65, v20, 0xbbc4, -v74
	v_add_f16_e32 v66, v66, v68
	v_sub_f16_e32 v68, v15, v16
	v_add_f16_e32 v74, v18, v19
	v_sub_f16_e32 v18, v18, v19
	v_add_f16_e32 v65, v65, v75
	v_add_f16_e32 v67, v67, v71
	v_mul_f16_e32 v75, 0xb94e, v68
	v_add_f16_e32 v49, v49, v69
	v_add_f16_e32 v69, v79, v73
	v_mul_f16_e32 v71, 0x3a95, v72
	v_fmamk_f16 v73, v20, 0x388b, v23
	v_fma_f16 v19, v20, 0x388b, -v23
	v_fma_f16 v20, v74, 0xb9fd, -v75
	v_add_f16_e32 v15, v15, v16
	v_mul_f16_e32 v16, 0xb94e, v18
	v_fma_f16 v72, v77, 0x388b, -v71
	v_fmac_f16_e32 v71, 0x388b, v77
	v_add_f16_e32 v19, v19, v24
	v_add_f16_e32 v20, v20, v25
	v_mul_f16_e32 v23, 0x3bf1, v68
	v_fmamk_f16 v24, v15, 0xb9fd, v16
	v_fma_f16 v16, v15, 0xb9fd, -v16
	v_mul_f16_e32 v25, 0x3bf1, v18
	v_add_f16_e32 v17, v71, v17
	v_fmac_f16_e32 v75, 0xb9fd, v74
	v_fma_f16 v71, v74, 0x2fb7, -v23
	v_add_f16_e32 v16, v16, v22
	v_fmamk_f16 v22, v15, 0x2fb7, v25
	v_add_f16_e32 v24, v24, v28
	v_add_f16_e32 v28, v75, v33
	;; [unrolled: 1-line block ×3, first 2 shown]
	v_mul_f16_e32 v62, 0xba95, v68
	v_fmac_f16_e32 v23, 0x2fb7, v74
	v_fma_f16 v25, v15, 0x2fb7, -v25
	v_add_f16_e32 v22, v22, v27
	v_mul_f16_e32 v27, 0xba95, v18
	v_fma_f16 v71, v74, 0x388b, -v62
	v_add_f16_e32 v23, v23, v26
	v_add_f16_e32 v25, v25, v29
	v_mul_f16_e32 v26, 0x33a8, v68
	v_fmamk_f16 v29, v15, 0x388b, v27
	v_add_f16_e32 v70, v71, v70
	v_fmac_f16_e32 v62, 0x388b, v74
	v_fma_f16 v27, v15, 0x388b, -v27
	v_fma_f16 v71, v74, 0xbbc4, -v26
	v_add_f16_e32 v29, v29, v36
	v_mul_f16_e32 v36, 0x33a8, v18
	v_add_f16_e32 v62, v62, v64
	v_add_f16_e32 v27, v27, v31
	;; [unrolled: 1-line block ×3, first 2 shown]
	v_mul_f16_e32 v63, 0x3770, v68
	v_fmamk_f16 v64, v15, 0xbbc4, v36
	v_fmac_f16_e32 v26, 0xbbc4, v74
	v_mul_f16_e32 v71, 0x3770, v18
	v_add_f16_e32 v72, v72, v76
	v_fma_f16 v75, v74, 0x3b15, -v63
	v_add_f16_e32 v64, v64, v67
	v_add_f16_e32 v26, v26, v30
	v_fmamk_f16 v30, v15, 0x3b15, v71
	v_mul_f16_e32 v67, 0xbb7b, v68
	v_fmac_f16_e32 v63, 0x3b15, v74
	v_fma_f16 v36, v15, 0xbbc4, -v36
	v_mul_f16_e32 v18, 0xbb7b, v18
	v_add_f16_e32 v30, v30, v43
	v_fma_f16 v43, v15, 0x3b15, -v71
	v_fma_f16 v68, v74, 0xb5ac, -v67
	v_add_f16_e32 v63, v63, v66
	v_sub_f16_e32 v66, v9, v11
	v_add_f16_e32 v36, v36, v49
	v_add_f16_e32 v43, v43, v65
	;; [unrolled: 1-line block ×4, first 2 shown]
	v_mul_f16_e32 v71, 0xb3a8, v66
	v_sub_f16_e32 v12, v12, v13
	v_add_f16_e32 v49, v75, v69
	v_fmamk_f16 v69, v15, 0xb5ac, v18
	v_fmac_f16_e32 v67, 0xb5ac, v74
	v_fma_f16 v13, v15, 0xb5ac, -v18
	v_fma_f16 v15, v68, 0xbbc4, -v71
	v_add_f16_e32 v9, v9, v11
	v_mul_f16_e32 v11, 0xb3a8, v12
	v_mul_f16_e32 v18, 0x3770, v66
	v_add_f16_e32 v17, v67, v17
	v_add_f16_e32 v13, v13, v19
	;; [unrolled: 1-line block ×3, first 2 shown]
	v_fmamk_f16 v19, v9, 0xbbc4, v11
	v_fmac_f16_e32 v71, 0xbbc4, v68
	v_fma_f16 v11, v9, 0xbbc4, -v11
	v_mul_f16_e32 v20, 0x3770, v12
	v_fma_f16 v67, v68, 0x3b15, -v18
	v_add_f16_e32 v19, v19, v24
	v_add_f16_e32 v24, v71, v28
	;; [unrolled: 1-line block ×3, first 2 shown]
	v_fmamk_f16 v16, v9, 0x3b15, v20
	v_add_f16_e32 v28, v67, v33
	v_mul_f16_e32 v33, 0xb94e, v66
	v_fmac_f16_e32 v18, 0x3b15, v68
	v_fma_f16 v20, v9, 0x3b15, -v20
	v_add_f16_e32 v16, v16, v22
	v_mul_f16_e32 v22, 0xb94e, v12
	v_fma_f16 v67, v68, 0xb9fd, -v33
	v_add_f16_e32 v18, v18, v23
	v_add_f16_e32 v23, v20, v25
	v_mul_f16_e32 v20, 0x3a95, v66
	v_fmamk_f16 v25, v9, 0xb9fd, v22
	v_add_f16_e32 v67, v67, v70
	v_fma_f16 v22, v9, 0xb9fd, -v22
	v_fmac_f16_e32 v33, 0xb9fd, v68
	v_fma_f16 v70, v68, 0x388b, -v20
	v_add_f16_e32 v25, v25, v29
	v_mul_f16_e32 v29, 0x3a95, v12
	v_add_f16_e32 v22, v22, v27
	v_add_f16_e32 v78, v78, v82
	;; [unrolled: 1-line block ×3, first 2 shown]
	v_mul_f16_e32 v31, 0xbb7b, v66
	v_add_f16_e32 v33, v33, v62
	v_fmamk_f16 v62, v9, 0x388b, v29
	v_mul_f16_e32 v70, 0xbb7b, v12
	v_fmac_f16_e32 v20, 0x388b, v68
	v_fma_f16 v29, v9, 0x388b, -v29
	v_fma_f16 v71, v68, 0xb5ac, -v31
	v_add_f16_e32 v73, v73, v78
	v_add_f16_e32 v62, v62, v64
	v_fmamk_f16 v64, v9, 0xb5ac, v70
	v_add_f16_e32 v20, v20, v26
	v_add_f16_e32 v26, v29, v36
	;; [unrolled: 1-line block ×3, first 2 shown]
	v_mul_f16_e32 v36, 0x3bf1, v66
	v_fma_f16 v49, v9, 0xb5ac, -v70
	v_mul_f16_e32 v12, 0x3bf1, v12
	v_add_f16_e32 v69, v69, v73
	v_add_f16_e32 v30, v64, v30
	v_fmac_f16_e32 v31, 0xb5ac, v68
	v_fma_f16 v64, v68, 0x2fb7, -v36
	v_lshrrev_b32_e32 v66, 1, v2
	v_add_f16_e32 v43, v49, v43
	v_fmamk_f16 v49, v9, 0x2fb7, v12
	v_add_f16_e32 v31, v31, v63
	v_add_f16_e32 v63, v64, v65
	v_mul_u32_u24_e32 v64, 26, v66
	v_fma_f16 v9, v9, 0x2fb7, -v12
	v_add_f16_e32 v12, v49, v69
	v_lshrrev_b32_e32 v49, 1, v10
	v_fmac_f16_e32 v36, 0x2fb7, v68
	v_or_b32_e32 v64, v64, v3
	v_add_f16_e32 v13, v9, v13
	s_delay_alu instid0(VALU_DEP_4) | instskip(NEXT) | instid1(VALU_DEP_4)
	v_mul_u32_u24_e32 v9, 26, v49
	v_add_f16_e32 v17, v36, v17
	s_delay_alu instid0(VALU_DEP_4)
	v_lshl_add_u32 v36, v64, 1, 0
	ds_store_b16 v36, v21
	ds_store_b16 v36, v51 offset:4
	ds_store_b16 v36, v52 offset:8
	;; [unrolled: 1-line block ×7, first 2 shown]
	v_or_b32_e32 v3, v9, v3
	v_subrev_nc_u32_e32 v9, 26, v2
	s_delay_alu instid0(VALU_DEP_2)
	v_lshl_add_u32 v49, v3, 1, 0
	ds_store_b16 v36, v58 offset:32
	ds_store_b16 v36, v56 offset:36
	;; [unrolled: 1-line block ×5, first 2 shown]
	ds_store_b16 v49, v47
	ds_store_b16 v49, v15 offset:4
	ds_store_b16 v49, v28 offset:8
	;; [unrolled: 1-line block ×12, first 2 shown]
	s_wait_alu 0xf1ff
	v_cndmask_b32_e64 v20, v9, v2, s0
	global_wb scope:SCOPE_SE
	s_wait_dscnt 0x0
	s_barrier_signal -1
	s_barrier_wait -1
	global_inv scope:SCOPE_SE
	v_mul_i32_i24_e32 v3, 12, v20
	ds_load_u16 v29, v8
	ds_load_u16 v27, v8 offset:832
	ds_load_u16 v28, v8 offset:1664
	;; [unrolled: 1-line block ×25, first 2 shown]
	global_wb scope:SCOPE_SE
	s_wait_dscnt 0x0
	s_barrier_signal -1
	s_barrier_wait -1
	v_lshlrev_b64_e32 v[3:4], 2, v[3:4]
	global_inv scope:SCOPE_SE
	ds_store_b16 v36, v14
	ds_store_b16 v36, v34 offset:4
	ds_store_b16 v36, v38 offset:8
	;; [unrolled: 1-line block ×12, first 2 shown]
	ds_store_b16 v49, v37
	ds_store_b16 v49, v19 offset:4
	ds_store_b16 v49, v16 offset:8
	;; [unrolled: 1-line block ×12, first 2 shown]
	v_add_co_u32 v3, s1, s4, v3
	s_wait_alu 0xf1ff
	v_add_co_ci_u32_e64 v4, s1, s5, v4, s1
	global_wb scope:SCOPE_SE
	s_wait_dscnt 0x0
	s_barrier_signal -1
	s_barrier_wait -1
	global_inv scope:SCOPE_SE
	s_clause 0x1
	global_load_b128 v[11:14], v[3:4], off offset:96
	global_load_b128 v[15:18], v[3:4], off offset:112
	v_and_b32_e32 v19, 0xff, v10
	global_load_b128 v[22:25], v[3:4], off offset:128
	v_cmp_lt_u32_e64 s1, 25, v2
	v_lshlrev_b32_e32 v20, 1, v20
	v_mul_lo_u16 v19, 0x4f, v19
	s_delay_alu instid0(VALU_DEP_1) | instskip(NEXT) | instid1(VALU_DEP_1)
	v_lshrrev_b16 v35, 11, v19
	v_mul_lo_u16 v19, v35, 26
	v_and_b32_e32 v35, 0xffff, v35
	s_delay_alu instid0(VALU_DEP_2) | instskip(NEXT) | instid1(VALU_DEP_1)
	v_sub_nc_u16 v10, v10, v19
	v_and_b32_e32 v31, 0xff, v10
	s_delay_alu instid0(VALU_DEP_1) | instskip(SKIP_1) | instid1(VALU_DEP_2)
	v_mul_u32_u24_e32 v3, 12, v31
	v_lshlrev_b32_e32 v31, 1, v31
	v_lshlrev_b32_e32 v3, 2, v3
	s_clause 0x2
	global_load_b128 v[39:42], v3, s[4:5] offset:96
	global_load_b128 v[43:46], v3, s[4:5] offset:112
	;; [unrolled: 1-line block ×3, first 2 shown]
	ds_load_u16 v4, v8 offset:832
	ds_load_u16 v10, v8 offset:1664
	;; [unrolled: 1-line block ×25, first 2 shown]
	s_wait_loadcnt 0x5
	v_lshrrev_b32_e32 v37, 16, v11
	v_lshrrev_b32_e32 v64, 16, v12
	;; [unrolled: 1-line block ×4, first 2 shown]
	s_wait_dscnt 0x11
	v_mul_f16_e32 v72, v34, v37
	v_mul_f16_e32 v80, v55, v37
	;; [unrolled: 1-line block ×5, first 2 shown]
	v_fma_f16 v81, v55, v11, -v72
	v_fmac_f16_e32 v80, v34, v11
	v_mul_f16_e32 v11, v26, v66
	v_mul_f16_e32 v72, v33, v66
	v_fma_f16 v79, v53, v12, -v37
	v_fmac_f16_e32 v78, v32, v12
	v_mul_f16_e32 v12, v4, v73
	v_fma_f16 v73, v33, v13, -v11
	s_wait_loadcnt 0x4
	v_lshrrev_b32_e32 v11, 16, v15
	v_fmac_f16_e32 v72, v26, v13
	v_fmac_f16_e32 v64, v4, v14
	v_lshrrev_b32_e32 v4, 16, v16
	v_lshrrev_b32_e32 v13, 16, v17
	v_fma_f16 v66, v27, v14, -v12
	s_wait_dscnt 0xb
	v_mul_f16_e32 v12, v36, v11
	v_mul_f16_e32 v53, v63, v11
	v_lshrrev_b32_e32 v11, 16, v18
	v_mul_f16_e32 v14, v38, v4
	v_mul_f16_e32 v34, v59, v4
	;; [unrolled: 1-line block ×3, first 2 shown]
	v_fma_f16 v55, v63, v15, -v12
	v_fmac_f16_e32 v53, v36, v15
	v_mul_f16_e32 v36, v57, v13
	v_fmac_f16_e32 v34, v38, v16
	v_mul_f16_e32 v12, v10, v11
	v_fma_f16 v38, v57, v17, -v4
	v_mul_f16_e32 v57, v28, v11
	s_wait_loadcnt 0x3
	v_lshrrev_b32_e32 v4, 16, v22
	v_lshrrev_b32_e32 v11, 16, v23
	v_fma_f16 v37, v59, v16, -v14
	v_fmac_f16_e32 v36, v69, v17
	v_fma_f16 v59, v28, v18, -v12
	v_fmac_f16_e32 v57, v10, v18
	v_lshrrev_b32_e32 v10, 16, v24
	s_wait_dscnt 0x4
	v_mul_f16_e32 v12, v77, v4
	v_mul_f16_e32 v69, v71, v4
	v_mul_f16_e32 v4, v76, v11
	v_lshrrev_b32_e32 v13, 16, v25
	v_mul_f16_e32 v74, v75, v11
	v_fma_f16 v71, v71, v22, -v12
	v_fmac_f16_e32 v69, v77, v22
	v_fma_f16 v75, v75, v23, -v4
	v_mul_f16_e32 v4, v91, v10
	v_mul_f16_e32 v77, v68, v10
	s_wait_dscnt 0x2
	v_mul_f16_e32 v10, v95, v13
	v_fmac_f16_e32 v74, v76, v23
	v_mul_f16_e32 v76, v83, v13
	v_fma_f16 v82, v68, v24, -v4
	s_wait_loadcnt 0x2
	v_lshrrev_b32_e32 v4, 16, v39
	v_fma_f16 v83, v83, v25, -v10
	v_lshrrev_b32_e32 v10, 16, v40
	v_lshrrev_b32_e32 v12, 16, v41
	v_fmac_f16_e32 v76, v95, v25
	v_mul_f16_e32 v11, v48, v4
	v_mul_f16_e32 v32, v56, v4
	v_lshrrev_b32_e32 v4, 16, v42
	v_mul_f16_e32 v13, v30, v10
	v_mul_f16_e32 v26, v54, v10
	;; [unrolled: 1-line block ×3, first 2 shown]
	v_fma_f16 v33, v56, v39, -v11
	v_mul_f16_e32 v23, v47, v12
	v_mul_f16_e32 v11, v89, v4
	v_mul_f16_e32 v18, v65, v4
	v_fma_f16 v25, v47, v41, -v10
	s_wait_loadcnt 0x1
	v_lshrrev_b32_e32 v4, 16, v43
	v_lshrrev_b32_e32 v10, 16, v44
	;; [unrolled: 1-line block ×3, first 2 shown]
	v_fma_f16 v27, v54, v40, -v13
	v_fmac_f16_e32 v23, v19, v41
	v_fma_f16 v19, v65, v42, -v11
	v_mul_f16_e32 v11, v88, v4
	v_mul_f16_e32 v14, v61, v4
	;; [unrolled: 1-line block ×5, first 2 shown]
	v_fma_f16 v15, v61, v43, -v11
	s_wait_loadcnt 0x0
	v_lshrrev_b32_e32 v28, 16, v50
	v_fma_f16 v11, v60, v44, -v13
	v_fmac_f16_e32 v77, v91, v24
	v_fma_f16 v13, v58, v45, -v10
	v_lshrrev_b32_e32 v10, 16, v49
	v_fmac_f16_e32 v32, v48, v39
	v_lshrrev_b32_e32 v16, 16, v46
	v_lshrrev_b32_e32 v39, 16, v51
	v_fmac_f16_e32 v26, v30, v40
	v_mul_f16_e32 v24, v93, v10
	v_mul_f16_e32 v22, v84, v10
	;; [unrolled: 1-line block ×5, first 2 shown]
	v_lshrrev_b32_e32 v40, 16, v52
	v_mul_f16_e32 v28, v70, v28
	v_mul_f16_e32 v41, v90, v39
	v_fma_f16 v30, v70, v50, -v10
	v_sub_f16_e32 v10, v80, v76
	v_fmac_f16_e32 v18, v89, v42
	v_fmac_f16_e32 v14, v88, v43
	v_mul_f16_e32 v12, v58, v12
	v_fma_f16 v17, v85, v46, -v17
	v_fmac_f16_e32 v16, v94, v46
	v_fma_f16 v24, v84, v49, -v24
	v_fmac_f16_e32 v22, v93, v49
	v_fmac_f16_e32 v28, v92, v50
	v_fma_f16 v46, v67, v51, -v41
	v_mul_f16_e32 v43, v67, v39
	v_add_f16_e32 v39, v81, v83
	v_mul_f16_e32 v41, 0xb770, v10
	s_wait_dscnt 0x1
	v_mul_f16_e32 v42, v96, v40
	v_mul_f16_e32 v50, v86, v40
	;; [unrolled: 1-line block ×3, first 2 shown]
	v_sub_f16_e32 v56, v78, v77
	v_fmac_f16_e32 v4, v87, v44
	v_fmac_f16_e32 v12, v62, v45
	v_mul_f16_e32 v40, 0xba95, v10
	v_fma_f16 v44, v39, 0x3b15, -v41
	v_fma_f16 v54, v86, v52, -v42
	v_fmac_f16_e32 v50, v96, v52
	v_fmac_f16_e32 v41, 0x3b15, v39
	v_mul_f16_e32 v45, 0xbbf1, v10
	v_mul_f16_e32 v47, 0xbb7b, v10
	v_fma_f16 v52, v39, 0xb9fd, -v49
	v_mul_f16_e32 v10, 0xb3a8, v10
	v_fmac_f16_e32 v49, 0xb9fd, v39
	v_add_f16_e32 v58, v79, v82
	v_mul_f16_e32 v60, 0xba95, v56
	v_fmac_f16_e32 v43, v90, v51
	v_fma_f16 v42, v39, 0x388b, -v40
	v_add_f16_e32 v44, v29, v44
	v_fmac_f16_e32 v40, 0x388b, v39
	v_add_f16_e32 v41, v29, v41
	v_fma_f16 v48, v39, 0x2fb7, -v45
	v_fmac_f16_e32 v45, 0x2fb7, v39
	v_fma_f16 v51, v39, 0xb5ac, -v47
	v_fmac_f16_e32 v47, 0xb5ac, v39
	;; [unrolled: 2-line block ×3, first 2 shown]
	v_add_f16_e32 v39, v29, v49
	v_mul_f16_e32 v49, 0xbb7b, v56
	v_fma_f16 v62, v58, 0x388b, -v60
	v_fmac_f16_e32 v60, 0x388b, v58
	v_add_f16_e32 v42, v29, v42
	v_add_f16_e32 v40, v29, v40
	v_fma_f16 v63, v58, 0xb5ac, -v49
	v_add_f16_e32 v44, v62, v44
	v_fmac_f16_e32 v49, 0xb5ac, v58
	v_mul_f16_e32 v62, 0xb3a8, v56
	v_add_f16_e32 v41, v60, v41
	v_mul_f16_e32 v60, 0x394e, v56
	v_add_f16_e32 v48, v29, v48
	v_add_f16_e32 v47, v29, v47
	;; [unrolled: 1-line block ×4, first 2 shown]
	v_fma_f16 v49, v58, 0xbbc4, -v62
	v_mul_f16_e32 v63, 0x3bf1, v56
	v_fma_f16 v65, v58, 0xb9fd, -v60
	v_fmac_f16_e32 v60, 0xb9fd, v58
	v_add_f16_e32 v45, v29, v45
	v_add_f16_e32 v51, v29, v51
	;; [unrolled: 1-line block ×3, first 2 shown]
	v_fmac_f16_e32 v62, 0xbbc4, v58
	v_add_f16_e32 v48, v49, v48
	v_fma_f16 v49, v58, 0x2fb7, -v63
	v_add_f16_e32 v47, v60, v47
	v_sub_f16_e32 v60, v72, v74
	v_mul_f16_e32 v56, 0x3770, v56
	v_add_f16_e32 v10, v29, v10
	v_add_f16_e32 v45, v62, v45
	;; [unrolled: 1-line block ×4, first 2 shown]
	v_fmac_f16_e32 v63, 0x2fb7, v58
	v_add_f16_e32 v52, v73, v75
	v_mul_f16_e32 v62, 0xbbf1, v60
	v_fma_f16 v65, v58, 0x3b15, -v56
	v_fmac_f16_e32 v56, 0x3b15, v58
	v_mul_f16_e32 v58, 0xb3a8, v60
	v_add_f16_e32 v39, v63, v39
	v_fma_f16 v63, v52, 0x2fb7, -v62
	v_add_f16_e32 v61, v29, v61
	v_add_f16_e32 v10, v56, v10
	v_fma_f16 v56, v52, 0xbbc4, -v58
	v_fmac_f16_e32 v62, 0x2fb7, v52
	v_add_f16_e32 v44, v63, v44
	v_fmac_f16_e32 v58, 0xbbc4, v52
	v_mul_f16_e32 v63, 0x3b7b, v60
	v_add_f16_e32 v42, v56, v42
	v_mul_f16_e32 v56, 0x3770, v60
	v_add_f16_e32 v61, v65, v61
	v_add_f16_e32 v41, v62, v41
	;; [unrolled: 1-line block ×3, first 2 shown]
	v_fma_f16 v58, v52, 0xb5ac, -v63
	v_mul_f16_e32 v62, 0xba95, v60
	v_fma_f16 v65, v52, 0x3b15, -v56
	v_fmac_f16_e32 v56, 0x3b15, v52
	v_fmac_f16_e32 v63, 0xb5ac, v52
	v_add_f16_e32 v48, v58, v48
	v_fma_f16 v58, v52, 0x388b, -v62
	v_mul_f16_e32 v60, 0xb94e, v60
	v_add_f16_e32 v47, v56, v47
	v_sub_f16_e32 v56, v64, v69
	v_add_f16_e32 v45, v63, v45
	v_add_f16_e32 v51, v65, v51
	;; [unrolled: 1-line block ×3, first 2 shown]
	v_fmac_f16_e32 v62, 0x388b, v52
	v_add_f16_e32 v58, v66, v71
	v_mul_f16_e32 v63, 0xbb7b, v56
	v_fma_f16 v65, v52, 0xb9fd, -v60
	v_fmac_f16_e32 v60, 0xb9fd, v52
	v_mul_f16_e32 v52, 0x394e, v56
	v_add_f16_e32 v39, v62, v39
	v_fma_f16 v62, v58, 0xb5ac, -v63
	v_fmac_f16_e32 v63, 0xb5ac, v58
	v_add_f16_e32 v10, v60, v10
	v_fma_f16 v60, v58, 0xb9fd, -v52
	v_fmac_f16_e32 v52, 0xb9fd, v58
	v_add_f16_e32 v44, v62, v44
	v_mul_f16_e32 v62, 0x3770, v56
	v_add_f16_e32 v61, v65, v61
	v_add_f16_e32 v42, v60, v42
	v_mul_f16_e32 v60, 0xbbf1, v56
	v_add_f16_e32 v41, v63, v41
	v_add_f16_e32 v40, v52, v40
	v_fma_f16 v52, v58, 0x3b15, -v62
	v_mul_f16_e32 v63, 0x33a8, v56
	v_fma_f16 v65, v58, 0x2fb7, -v60
	v_fmac_f16_e32 v60, 0x2fb7, v58
	v_fmac_f16_e32 v62, 0x3b15, v58
	v_add_f16_e32 v48, v52, v48
	v_fma_f16 v52, v58, 0xbbc4, -v63
	v_mul_f16_e32 v56, 0x3a95, v56
	v_add_f16_e32 v47, v60, v47
	v_sub_f16_e32 v60, v53, v57
	v_add_f16_e32 v45, v62, v45
	v_add_f16_e32 v51, v65, v51
	;; [unrolled: 1-line block ×3, first 2 shown]
	v_fmac_f16_e32 v63, 0xbbc4, v58
	v_add_f16_e32 v52, v55, v59
	v_mul_f16_e32 v62, 0xb94e, v60
	v_fma_f16 v65, v58, 0x388b, -v56
	v_fmac_f16_e32 v56, 0x388b, v58
	v_mul_f16_e32 v58, 0x3bf1, v60
	v_add_f16_e32 v39, v63, v39
	v_fma_f16 v63, v52, 0xb9fd, -v62
	v_fmac_f16_e32 v62, 0xb9fd, v52
	v_add_f16_e32 v10, v56, v10
	v_fma_f16 v56, v52, 0x2fb7, -v58
	v_fmac_f16_e32 v58, 0x2fb7, v52
	v_add_f16_e32 v44, v63, v44
	v_mul_f16_e32 v63, 0xba95, v60
	v_add_f16_e32 v61, v65, v61
	v_add_f16_e32 v42, v56, v42
	v_mul_f16_e32 v56, 0x33a8, v60
	v_add_f16_e32 v41, v62, v41
	v_add_f16_e32 v40, v58, v40
	v_fma_f16 v58, v52, 0x388b, -v63
	v_mul_f16_e32 v62, 0x3770, v60
	v_fma_f16 v65, v52, 0xbbc4, -v56
	v_fmac_f16_e32 v56, 0xbbc4, v52
	v_fmac_f16_e32 v63, 0x388b, v52
	v_add_f16_e32 v48, v58, v48
	v_fma_f16 v58, v52, 0x3b15, -v62
	v_mul_f16_e32 v60, 0xbb7b, v60
	v_add_f16_e32 v47, v56, v47
	v_sub_f16_e32 v56, v34, v36
	v_add_f16_e32 v45, v63, v45
	v_add_f16_e32 v51, v65, v51
	;; [unrolled: 1-line block ×3, first 2 shown]
	v_fmac_f16_e32 v62, 0x3b15, v52
	v_add_f16_e32 v58, v37, v38
	v_mul_f16_e32 v63, 0xb3a8, v56
	v_fma_f16 v65, v52, 0xb5ac, -v60
	v_fmac_f16_e32 v60, 0xb5ac, v52
	v_mul_f16_e32 v52, 0x3770, v56
	v_add_f16_e32 v39, v62, v39
	v_fma_f16 v62, v58, 0xbbc4, -v63
	v_fmac_f16_e32 v63, 0xbbc4, v58
	v_add_f16_e32 v10, v60, v10
	v_fma_f16 v60, v58, 0x3b15, -v52
	v_fmac_f16_e32 v52, 0x3b15, v58
	v_add_f16_e32 v44, v62, v44
	v_mul_f16_e32 v62, 0xb94e, v56
	v_add_f16_e32 v61, v65, v61
	v_add_f16_e32 v42, v60, v42
	v_mul_f16_e32 v60, 0x3a95, v56
	v_add_f16_e32 v41, v63, v41
	v_fma_f16 v63, v58, 0xb9fd, -v62
	v_add_f16_e32 v40, v52, v40
	v_fmac_f16_e32 v62, 0xb9fd, v58
	v_mul_f16_e32 v52, 0xbb7b, v56
	v_fma_f16 v65, v58, 0x388b, -v60
	v_fmac_f16_e32 v60, 0x388b, v58
	v_mul_f16_e32 v56, 0x3bf1, v56
	v_add_f16_e32 v45, v62, v45
	v_fma_f16 v62, v58, 0xb5ac, -v52
	v_add_f16_e32 v48, v63, v48
	v_add_f16_e32 v47, v60, v47
	v_sub_f16_e32 v60, v32, v50
	v_add_f16_e32 v51, v65, v51
	v_add_f16_e32 v49, v62, v49
	v_fmac_f16_e32 v52, 0xb5ac, v58
	v_fma_f16 v62, v58, 0x2fb7, -v56
	v_add_f16_e32 v63, v33, v54
	v_mul_f16_e32 v65, 0xbbf1, v60
	v_fmac_f16_e32 v56, 0x2fb7, v58
	v_sub_f16_e32 v70, v26, v43
	v_add_f16_e32 v39, v52, v39
	v_add_f16_e32 v52, v62, v61
	v_mul_f16_e32 v58, 0xbb7b, v60
	v_fma_f16 v61, v63, 0x2fb7, -v65
	v_add_f16_e32 v56, v56, v10
	v_fmac_f16_e32 v65, 0x2fb7, v63
	v_mul_f16_e32 v10, 0xb94e, v60
	v_add_f16_e32 v85, v27, v46
	v_mul_f16_e32 v86, 0xb3a8, v70
	v_fma_f16 v62, v63, 0xb5ac, -v58
	v_add_f16_e32 v61, v21, v61
	v_fmac_f16_e32 v58, 0xb5ac, v63
	v_add_f16_e32 v65, v21, v65
	v_fma_f16 v67, v63, 0xb9fd, -v10
	v_mul_f16_e32 v68, 0xb3a8, v60
	v_mul_f16_e32 v87, 0x394e, v70
	v_fma_f16 v88, v85, 0xbbc4, -v86
	v_fmac_f16_e32 v86, 0xbbc4, v85
	v_mul_f16_e32 v90, 0x3bf1, v70
	v_add_f16_e32 v58, v21, v58
	v_add_f16_e32 v67, v21, v67
	v_fma_f16 v84, v63, 0xbbc4, -v68
	v_fma_f16 v89, v85, 0xb9fd, -v87
	v_add_f16_e32 v61, v88, v61
	v_fmac_f16_e32 v87, 0xb9fd, v85
	v_add_f16_e32 v65, v86, v65
	v_fma_f16 v86, v85, 0x2fb7, -v90
	v_mul_f16_e32 v88, 0x3770, v70
	v_add_f16_e32 v62, v21, v62
	v_fmac_f16_e32 v10, 0xb9fd, v63
	v_fmac_f16_e32 v68, 0xbbc4, v63
	v_add_f16_e32 v84, v21, v84
	v_add_f16_e32 v58, v87, v58
	v_sub_f16_e32 v87, v23, v28
	v_add_f16_e32 v67, v86, v67
	v_fma_f16 v86, v85, 0x3b15, -v88
	v_add_f16_e32 v10, v21, v10
	v_add_f16_e32 v68, v21, v68
	;; [unrolled: 1-line block ×3, first 2 shown]
	v_fmac_f16_e32 v90, 0x2fb7, v85
	v_add_f16_e32 v89, v25, v30
	v_mul_f16_e32 v91, 0x3b7b, v87
	v_fmac_f16_e32 v88, 0x3b15, v85
	v_add_f16_e32 v84, v86, v84
	v_mul_f16_e32 v86, 0x3770, v87
	v_add_f16_e32 v10, v90, v10
	v_fma_f16 v90, v89, 0xb5ac, -v91
	v_fmac_f16_e32 v91, 0xb5ac, v89
	v_add_f16_e32 v68, v88, v68
	v_mul_f16_e32 v88, 0xba95, v87
	v_fma_f16 v92, v89, 0x3b15, -v86
	v_add_f16_e32 v61, v90, v61
	v_add_f16_e32 v65, v91, v65
	v_fmac_f16_e32 v86, 0x3b15, v89
	v_fma_f16 v90, v89, 0x388b, -v88
	v_add_f16_e32 v62, v92, v62
	v_mul_f16_e32 v91, 0xb94e, v87
	v_fmac_f16_e32 v88, 0x388b, v89
	v_sub_f16_e32 v92, v18, v22
	v_add_f16_e32 v58, v86, v58
	v_add_f16_e32 v67, v90, v67
	v_fma_f16 v86, v89, 0xb9fd, -v91
	v_add_f16_e32 v90, v19, v24
	v_mul_f16_e32 v93, 0x3770, v92
	v_fmac_f16_e32 v91, 0xb9fd, v89
	v_add_f16_e32 v10, v88, v10
	v_mul_f16_e32 v88, 0xbbf1, v92
	v_add_f16_e32 v84, v86, v84
	v_fma_f16 v86, v90, 0x3b15, -v93
	v_add_f16_e32 v68, v91, v68
	v_mul_f16_e32 v94, 0x33a8, v92
	v_fma_f16 v91, v90, 0x2fb7, -v88
	v_fmac_f16_e32 v88, 0x2fb7, v90
	v_fmac_f16_e32 v93, 0x3b15, v90
	v_add_f16_e32 v61, v86, v61
	v_fma_f16 v86, v90, 0xbbc4, -v94
	v_add_f16_e32 v62, v91, v62
	v_mul_f16_e32 v91, 0x3a95, v92
	v_add_f16_e32 v58, v88, v58
	v_sub_f16_e32 v88, v14, v16
	v_fmac_f16_e32 v94, 0xbbc4, v90
	v_add_f16_e32 v65, v93, v65
	v_add_f16_e32 v67, v86, v67
	v_fma_f16 v86, v90, 0x388b, -v91
	v_add_f16_e32 v93, v15, v17
	v_mul_f16_e32 v95, 0xba95, v88
	v_fmac_f16_e32 v91, 0x388b, v90
	v_add_f16_e32 v10, v94, v10
	v_mul_f16_e32 v94, 0x33a8, v88
	v_add_f16_e32 v84, v86, v84
	v_fma_f16 v86, v93, 0x388b, -v95
	v_add_f16_e32 v68, v91, v68
	v_mul_f16_e32 v96, 0x3770, v88
	v_fma_f16 v91, v93, 0xbbc4, -v94
	v_fmac_f16_e32 v94, 0xbbc4, v93
	v_add_f16_e32 v61, v86, v61
	v_add_f16_e32 v29, v29, v81
	v_fma_f16 v86, v93, 0x3b15, -v96
	v_add_f16_e32 v62, v91, v62
	v_mul_f16_e32 v91, 0xbb7b, v88
	v_fmac_f16_e32 v95, 0x388b, v93
	v_add_f16_e32 v58, v94, v58
	v_fmac_f16_e32 v96, 0x3b15, v93
	v_add_f16_e32 v67, v86, v67
	v_fma_f16 v86, v93, 0xb5ac, -v91
	v_add_f16_e32 v29, v29, v79
	v_add_f16_e32 v94, v21, v33
	;; [unrolled: 1-line block ×4, first 2 shown]
	v_pk_mul_f16 v10, 0xb770ba95, v60 op_sel_hi:[1,0]
	v_add_f16_e32 v60, v86, v84
	v_add_f16_e32 v29, v29, v73
	v_add_f16_e32 v84, v94, v27
	v_fmac_f16_e32 v91, 0xb5ac, v93
	v_pk_fma_f16 v86, 0x3b15388b, v63, v10 op_sel_hi:[1,0,1] neg_lo:[0,0,1] neg_hi:[0,0,1]
	v_pk_mul_f16 v70, 0xba95bb7b, v70 op_sel_hi:[1,0]
	v_add_f16_e32 v29, v29, v66
	v_add_f16_e32 v84, v84, v25
	;; [unrolled: 1-line block ×3, first 2 shown]
	v_lshrrev_b32_e32 v91, 16, v86
	v_pk_fma_f16 v94, 0x388bb5ac, v85, v70 op_sel_hi:[1,0,1] neg_lo:[0,0,1] neg_hi:[0,0,1]
	v_add_f16_e32 v29, v29, v55
	v_add_f16_e32 v84, v84, v19
	v_pk_fma_f16 v10, 0x3b15388b, v63, v10 op_sel_hi:[1,0,1]
	v_add_f16_e32 v63, v21, v91
	v_lshrrev_b32_e32 v91, 16, v94
	v_add_f16_e32 v29, v29, v37
	v_add_f16_e32 v84, v84, v15
	v_pk_mul_f16 v87, 0xbbf1b3a8, v87 op_sel_hi:[1,0]
	v_add_f16_e32 v86, v21, v86
	v_add_f16_e32 v63, v91, v63
	;; [unrolled: 1-line block ×4, first 2 shown]
	v_pk_fma_f16 v91, 0x2fb7bbc4, v89, v87 op_sel_hi:[1,0,1] neg_lo:[0,0,1] neg_hi:[0,0,1]
	v_pk_add_f16 v10, v21, v10 op_sel_hi:[0,1]
	v_pk_fma_f16 v70, 0x388bb5ac, v85, v70 op_sel_hi:[1,0,1]
	v_pk_mul_f16 v85, 0xbb7b394e, v92 op_sel_hi:[1,0]
	v_add_f16_e32 v86, v94, v86
	v_add_f16_e32 v21, v29, v59
	;; [unrolled: 1-line block ×3, first 2 shown]
	v_lshrrev_b32_e32 v84, 16, v91
	v_pk_add_f16 v10, v70, v10
	v_pk_fma_f16 v70, 0xb5acb9fd, v90, v85 op_sel_hi:[1,0,1] neg_lo:[0,0,1] neg_hi:[0,0,1]
	v_add_f16_e32 v86, v91, v86
	v_pk_fma_f16 v85, 0xb5acb9fd, v90, v85 op_sel_hi:[1,0,1]
	v_add_f16_e32 v63, v84, v63
	v_pk_fma_f16 v84, 0x2fb7bbc4, v89, v87 op_sel_hi:[1,0,1]
	v_pk_mul_f16 v87, 0xb94e3bf1, v88 op_sel_hi:[1,0]
	v_lshrrev_b32_e32 v88, 16, v70
	v_sub_f16_e32 v89, v4, v12
	v_add_f16_e32 v70, v70, v86
	v_pk_add_f16 v10, v84, v10
	v_pk_fma_f16 v84, 0xb9fd2fb7, v93, v87 op_sel_hi:[1,0,1] neg_lo:[0,0,1] neg_hi:[0,0,1]
	v_add_f16_e32 v63, v88, v63
	v_add_f16_e32 v88, v11, v13
	v_pk_mul_f16 v90, 0xb3a83770, v89 op_sel_hi:[1,0]
	v_pk_add_f16 v10, v85, v10
	v_lshrrev_b32_e32 v86, 16, v84
	v_pk_fma_f16 v87, 0xb9fd2fb7, v93, v87 op_sel_hi:[1,0,1]
	v_add_f16_e32 v70, v84, v70
	v_pk_fma_f16 v85, 0xbbc43b15, v88, v90 op_sel_hi:[1,0,1] neg_lo:[0,0,1] neg_hi:[0,0,1]
	v_mul_f16_e32 v84, 0xb94e, v89
	v_add_f16_e32 v29, v29, v17
	v_pk_add_f16 v10, v87, v10
	v_pk_fma_f16 v87, 0xbbc43b15, v88, v90 op_sel_hi:[1,0,1]
	v_lshrrev_b32_e32 v91, 16, v85
	v_fma_f16 v90, v88, 0xb9fd, -v84
	v_add_f16_e32 v70, v85, v70
	v_fmac_f16_e32 v84, 0xb9fd, v88
	v_mul_f16_e32 v85, 0x3a95, v89
	v_add_f16_e32 v21, v21, v71
	v_pk_add_f16 v10, v87, v10
	v_mul_f16_e32 v87, 0xbb7b, v89
	v_add_f16_e32 v65, v84, v65
	v_fma_f16 v84, v88, 0x388b, -v85
	v_mul_f16_e32 v89, 0x3bf1, v89
	v_add_f16_e32 v29, v29, v24
	v_add_f16_e32 v21, v21, v75
	v_fmac_f16_e32 v85, 0x388b, v88
	v_add_f16_e32 v62, v84, v62
	v_fma_f16 v84, v88, 0x2fb7, -v89
	v_add_f16_e32 v29, v29, v30
	v_add_f16_e32 v21, v21, v82
	;; [unrolled: 1-line block ×3, first 2 shown]
	ds_load_u16 v86, v8
	v_add_f16_e32 v60, v84, v60
	s_wait_alu 0xf1ff
	v_cndmask_b32_e64 v84, 0, 0x2a4, s1
	v_add_f16_e32 v29, v29, v46
	v_add_f16_e32 v61, v90, v61
	v_fma_f16 v90, v88, 0xb5ac, -v87
	v_fmac_f16_e32 v89, 0x2fb7, v88
	v_add_f16_e32 v21, v21, v83
	v_fmac_f16_e32 v87, 0xb5ac, v88
	v_add_f16_e32 v58, v85, v58
	v_add3_u32 v85, 0, v84, v20
	v_mul_u32_u24_e32 v20, 0x2a4, v35
	v_add_f16_e32 v29, v29, v54
	v_add_f16_e32 v63, v91, v63
	;; [unrolled: 1-line block ×5, first 2 shown]
	global_wb scope:SCOPE_SE
	s_wait_dscnt 0x0
	s_barrier_signal -1
	s_barrier_wait -1
	global_inv scope:SCOPE_SE
	ds_store_b16 v85, v21
	ds_store_b16 v85, v44 offset:52
	ds_store_b16 v85, v42 offset:104
	;; [unrolled: 1-line block ×7, first 2 shown]
	v_add3_u32 v84, 0, v20, v31
	ds_store_b16 v85, v39 offset:416
	ds_store_b16 v85, v47 offset:468
	;; [unrolled: 1-line block ×5, first 2 shown]
	ds_store_b16 v84, v29
	ds_store_b16 v84, v63 offset:52
	ds_store_b16 v84, v70 offset:104
	ds_store_b16 v84, v61 offset:156
	ds_store_b16 v84, v62 offset:208
	ds_store_b16 v84, v67 offset:260
	ds_store_b16 v84, v60 offset:312
	ds_store_b16 v84, v68 offset:364
	ds_store_b16 v84, v87 offset:416
	ds_store_b16 v84, v58 offset:468
	ds_store_b16 v84, v65 offset:520
	ds_store_b16 v84, v10 offset:572
	ds_store_b16_d16_hi v84, v10 offset:624
	global_wb scope:SCOPE_SE
	s_wait_dscnt 0x0
	s_barrier_signal -1
	s_barrier_wait -1
	global_inv scope:SCOPE_SE
	ds_load_u16 v48, v8 offset:1560
	ds_load_u16 v56, v8 offset:1664
	ds_load_u16 v29, v8
	ds_load_u16 v31, v8 offset:104
	ds_load_u16 v35, v8 offset:208
	;; [unrolled: 1-line block ×21, first 2 shown]
                                        ; implicit-def: $vgpr20
                                        ; implicit-def: $vgpr21
	s_and_saveexec_b32 s1, s0
	s_cbranch_execz .LBB0_13
; %bb.12:
	ds_load_u16 v10, v8 offset:624
	ds_load_u16 v20, v8 offset:1976
	s_wait_dscnt 0x1
	ds_load_u16_d16_hi v10, v8 offset:1300
	ds_load_u16 v21, v8 offset:2652
.LBB0_13:
	s_wait_alu 0xfffe
	s_or_b32 exec_lo, exec_lo, s1
	v_add_f16_e32 v87, v86, v80
	v_sub_f16_e32 v81, v81, v83
	v_add_f16_e32 v83, v78, v77
	v_add_f16_e32 v80, v80, v76
	v_sub_f16_e32 v79, v79, v82
	v_add_f16_e32 v78, v87, v78
	v_mul_f16_e32 v82, 0xb770, v81
	v_mul_f16_e32 v87, 0xba95, v81
	v_mul_f16_e32 v88, 0xbbf1, v81
	v_mul_f16_e32 v89, 0xbb7b, v81
	v_add_f16_e32 v78, v78, v72
	v_mul_f16_e32 v90, 0xb94e, v81
	v_mul_f16_e32 v81, 0xb3a8, v81
	;; [unrolled: 1-line block ×4, first 2 shown]
	v_add_f16_e32 v78, v78, v64
	v_fmamk_f16 v94, v80, 0x3b15, v82
	v_fma_f16 v82, v80, 0x3b15, -v82
	v_fmamk_f16 v95, v80, 0x388b, v87
	v_fma_f16 v87, v80, 0x388b, -v87
	v_add_f16_e32 v78, v78, v53
	v_mul_f16_e32 v93, 0xb3a8, v79
	v_fmamk_f16 v96, v80, 0x2fb7, v88
	v_fma_f16 v88, v80, 0x2fb7, -v88
	v_fmamk_f16 v97, v80, 0xb5ac, v89
	v_add_f16_e32 v78, v78, v34
	v_fma_f16 v89, v80, 0xb5ac, -v89
	v_fmamk_f16 v98, v80, 0xb9fd, v90
	v_fma_f16 v90, v80, 0xb9fd, -v90
	v_fmamk_f16 v99, v80, 0xbbc4, v81
	v_add_f16_e32 v78, v78, v36
	v_fma_f16 v80, v80, 0xbbc4, -v81
	;; [unrolled: 5-line block ×3, first 2 shown]
	v_add_f16_e32 v94, v86, v94
	v_add_f16_e32 v82, v86, v82
	;; [unrolled: 1-line block ×19, first 2 shown]
	v_mul_f16_e32 v77, 0x394e, v79
	v_fmamk_f16 v87, v83, 0xbbc4, v93
	v_fma_f16 v91, v83, 0xbbc4, -v93
	v_mul_f16_e32 v92, 0x3bf1, v79
	v_sub_f16_e32 v73, v73, v75
	v_fmamk_f16 v93, v83, 0xb9fd, v77
	v_fma_f16 v77, v83, 0xb9fd, -v77
	v_add_f16_e32 v88, v91, v88
	v_fmamk_f16 v91, v83, 0x2fb7, v92
	v_mul_f16_e32 v75, 0x3770, v79
	v_add_f16_e32 v72, v72, v74
	v_add_f16_e32 v77, v77, v89
	v_fma_f16 v89, v83, 0x2fb7, -v92
	v_mul_f16_e32 v74, 0xbbf1, v73
	v_add_f16_e32 v79, v91, v98
	v_fmamk_f16 v91, v83, 0x3b15, v75
	v_fma_f16 v75, v83, 0x3b15, -v75
	v_add_f16_e32 v83, v89, v90
	v_mul_f16_e32 v89, 0xb3a8, v73
	v_fmamk_f16 v90, v72, 0x2fb7, v74
	v_add_f16_e32 v82, v100, v95
	v_add_f16_e32 v75, v75, v78
	;; [unrolled: 1-line block ×3, first 2 shown]
	v_fmamk_f16 v78, v72, 0xbbc4, v89
	v_add_f16_e32 v80, v90, v80
	v_fma_f16 v89, v72, 0xbbc4, -v89
	v_mul_f16_e32 v90, 0x3b7b, v73
	v_fma_f16 v74, v72, 0x2fb7, -v74
	v_add_f16_e32 v78, v78, v82
	v_sub_f16_e32 v66, v66, v71
	v_add_f16_e32 v82, v89, v86
	v_fmamk_f16 v86, v72, 0xb5ac, v90
	v_fma_f16 v89, v72, 0xb5ac, -v90
	v_mul_f16_e32 v90, 0xba95, v73
	v_add_f16_e32 v74, v74, v81
	v_mul_f16_e32 v81, 0x3770, v73
	v_add_f16_e32 v86, v86, v87
	v_add_f16_e32 v87, v89, v88
	v_fmamk_f16 v88, v72, 0x388b, v90
	v_mul_f16_e32 v71, 0xb94e, v73
	v_fmamk_f16 v92, v72, 0x3b15, v81
	v_fma_f16 v81, v72, 0x3b15, -v81
	v_add_f16_e32 v64, v64, v69
	v_add_f16_e32 v73, v88, v79
	v_fma_f16 v79, v72, 0x388b, -v90
	v_mul_f16_e32 v69, 0xbb7b, v66
	v_add_f16_e32 v77, v81, v77
	v_fmamk_f16 v81, v72, 0xb9fd, v71
	v_fma_f16 v71, v72, 0xb9fd, -v71
	v_add_f16_e32 v72, v79, v83
	v_mul_f16_e32 v79, 0x394e, v66
	v_fmamk_f16 v83, v64, 0xb5ac, v69
	v_fma_f16 v69, v64, 0xb5ac, -v69
	v_add_f16_e32 v71, v71, v75
	v_sub_f16_e32 v55, v55, v59
	v_fmamk_f16 v75, v64, 0xb9fd, v79
	v_add_f16_e32 v80, v83, v80
	v_fma_f16 v79, v64, 0xb9fd, -v79
	v_mul_f16_e32 v83, 0x3770, v66
	v_add_f16_e32 v69, v69, v74
	v_add_f16_e32 v74, v75, v78
	v_mul_f16_e32 v75, 0xbbf1, v66
	v_add_f16_e32 v78, v79, v82
	v_fmamk_f16 v79, v64, 0x3b15, v83
	v_fma_f16 v82, v64, 0x3b15, -v83
	v_mul_f16_e32 v83, 0x33a8, v66
	v_fmamk_f16 v88, v64, 0x2fb7, v75
	v_fma_f16 v75, v64, 0x2fb7, -v75
	v_add_f16_e32 v79, v79, v86
	v_mul_f16_e32 v59, 0x3a95, v66
	v_fmamk_f16 v86, v64, 0xbbc4, v83
	v_add_f16_e32 v53, v53, v57
	v_add_f16_e32 v75, v75, v77
	v_mul_f16_e32 v57, 0xb94e, v55
	v_fmamk_f16 v77, v64, 0x388b, v59
	v_add_f16_e32 v66, v86, v73
	v_fma_f16 v73, v64, 0xbbc4, -v83
	v_fma_f16 v59, v64, 0x388b, -v59
	v_add_f16_e32 v91, v91, v99
	v_sub_f16_e32 v37, v37, v38
	v_add_f16_e32 v34, v34, v36
	v_add_f16_e32 v64, v73, v72
	v_mul_f16_e32 v72, 0x3bf1, v55
	v_fmamk_f16 v73, v53, 0xb9fd, v57
	v_add_f16_e32 v59, v59, v71
	v_fma_f16 v57, v53, 0xb9fd, -v57
	v_add_f16_e32 v81, v81, v91
	v_fmamk_f16 v71, v53, 0x2fb7, v72
	v_add_f16_e32 v73, v73, v80
	v_fma_f16 v72, v53, 0x2fb7, -v72
	v_add_f16_e32 v57, v57, v69
	v_add_f16_e32 v77, v77, v81
	;; [unrolled: 1-line block ×3, first 2 shown]
	v_mul_f16_e32 v71, 0x33a8, v55
	v_mul_f16_e32 v80, 0xba95, v55
	v_add_f16_e32 v72, v72, v78
	v_mul_f16_e32 v36, 0xb3a8, v37
	v_add_f16_e32 v93, v93, v97
	v_fmamk_f16 v81, v53, 0xbbc4, v71
	v_fma_f16 v71, v53, 0xbbc4, -v71
	v_fmamk_f16 v74, v53, 0x388b, v80
	v_fma_f16 v78, v53, 0x388b, -v80
	v_mul_f16_e32 v80, 0x3770, v55
	v_mul_f16_e32 v55, 0xbb7b, v55
	v_add_f16_e32 v71, v71, v75
	v_add_f16_e32 v75, v3, v32
	;; [unrolled: 1-line block ×3, first 2 shown]
	v_fmamk_f16 v79, v53, 0x3b15, v80
	v_fma_f16 v38, v53, 0x3b15, -v80
	v_add_f16_e32 v82, v82, v87
	v_add_f16_e32 v75, v75, v26
	;; [unrolled: 1-line block ×4, first 2 shown]
	v_fmamk_f16 v79, v53, 0xb5ac, v55
	v_fma_f16 v53, v53, 0xb5ac, -v55
	v_add_f16_e32 v55, v75, v23
	v_add_f16_e32 v38, v38, v64
	v_fmamk_f16 v75, v34, 0xbbc4, v36
	v_add_f16_e32 v64, v79, v77
	v_mul_f16_e32 v77, 0x3770, v37
	v_add_f16_e32 v55, v55, v18
	v_fma_f16 v36, v34, 0xbbc4, -v36
	v_add_f16_e32 v53, v53, v59
	v_add_f16_e32 v59, v75, v73
	v_fmamk_f16 v73, v34, 0x3b15, v77
	v_add_f16_e32 v55, v55, v14
	v_mul_f16_e32 v75, 0xb94e, v37
	v_add_f16_e32 v36, v36, v57
	v_fma_f16 v57, v34, 0x3b15, -v77
	v_add_f16_e32 v78, v78, v82
	v_add_f16_e32 v55, v55, v4
	v_add_f16_e32 v69, v73, v69
	v_fmamk_f16 v73, v34, 0xb9fd, v75
	v_mul_f16_e32 v77, 0x3a95, v37
	v_add_f16_e32 v57, v57, v72
	v_add_f16_e32 v55, v55, v12
	v_fma_f16 v72, v34, 0xb9fd, -v75
	v_mul_f16_e32 v75, 0xbb7b, v37
	v_mul_f16_e32 v37, 0x3bf1, v37
	v_sub_f16_e32 v33, v33, v54
	v_add_f16_e32 v55, v55, v16
	v_add_f16_e32 v87, v88, v89
	;; [unrolled: 1-line block ×3, first 2 shown]
	v_fmamk_f16 v74, v34, 0x388b, v77
	v_add_f16_e32 v72, v72, v78
	v_add_f16_e32 v55, v55, v22
	v_fma_f16 v77, v34, 0x388b, -v77
	v_fmamk_f16 v78, v34, 0xb5ac, v75
	v_fma_f16 v75, v34, 0xb5ac, -v75
	v_add_f16_e32 v32, v32, v50
	v_add_f16_e32 v54, v55, v28
	v_fmamk_f16 v55, v34, 0x2fb7, v37
	v_fma_f16 v34, v34, 0x2fb7, -v37
	v_mul_f16_e32 v37, 0xbbf1, v33
	v_sub_f16_e32 v27, v27, v46
	v_add_f16_e32 v54, v54, v43
	v_add_f16_e32 v81, v81, v87
	v_add_f16_e32 v55, v55, v64
	v_fmamk_f16 v64, v32, 0x2fb7, v37
	v_fma_f16 v37, v32, 0x2fb7, -v37
	v_add_f16_e32 v50, v54, v50
	v_mul_f16_e32 v54, 0xb94e, v33
	v_add_f16_e32 v26, v26, v43
	v_mul_f16_e32 v43, 0xb3a8, v27
	v_add_f16_e32 v74, v74, v81
	v_add_f16_e32 v71, v77, v71
	;; [unrolled: 1-line block ×3, first 2 shown]
	v_mul_f16_e32 v53, 0xbb7b, v33
	v_add_f16_e32 v37, v3, v37
	v_fmamk_f16 v77, v32, 0xb9fd, v54
	v_fmamk_f16 v80, v26, 0xbbc4, v43
	v_fma_f16 v43, v26, 0xbbc4, -v43
	v_mul_f16_e32 v81, 0x3bf1, v27
	v_add_f16_e32 v66, v78, v66
	v_add_f16_e32 v38, v75, v38
	v_fmamk_f16 v75, v32, 0xb5ac, v53
	v_add_f16_e32 v64, v3, v64
	v_fma_f16 v53, v32, 0xb5ac, -v53
	v_mul_f16_e32 v78, 0xb3a8, v33
	v_add_f16_e32 v46, v3, v77
	v_fma_f16 v54, v32, 0xb9fd, -v54
	v_mul_f16_e32 v79, 0x394e, v27
	v_add_f16_e32 v37, v43, v37
	v_fmamk_f16 v43, v26, 0x2fb7, v81
	v_add_f16_e32 v53, v3, v53
	v_fmamk_f16 v77, v32, 0xbbc4, v78
	v_fma_f16 v78, v32, 0xbbc4, -v78
	v_add_f16_e32 v54, v3, v54
	v_fmamk_f16 v82, v26, 0xb9fd, v79
	v_add_f16_e32 v64, v80, v64
	v_fma_f16 v79, v26, 0xb9fd, -v79
	v_mul_f16_e32 v80, 0x3770, v27
	v_sub_f16_e32 v25, v25, v30
	v_add_f16_e32 v30, v43, v46
	v_fma_f16 v43, v26, 0x2fb7, -v81
	v_add_f16_e32 v75, v3, v75
	v_add_f16_e32 v77, v3, v77
	;; [unrolled: 1-line block ×4, first 2 shown]
	v_fmamk_f16 v46, v26, 0x3b15, v80
	v_add_f16_e32 v23, v23, v28
	v_mul_f16_e32 v28, 0x3b7b, v25
	v_fma_f16 v79, v26, 0x3b15, -v80
	v_add_f16_e32 v43, v43, v54
	v_mul_f16_e32 v54, 0x3770, v25
	v_add_f16_e32 v75, v82, v75
	v_add_f16_e32 v46, v46, v77
	v_fmamk_f16 v77, v23, 0xb5ac, v28
	v_add_f16_e32 v78, v79, v78
	v_mul_f16_e32 v79, 0xba95, v25
	v_fma_f16 v28, v23, 0xb5ac, -v28
	v_fmamk_f16 v80, v23, 0x3b15, v54
	v_fma_f16 v54, v23, 0x3b15, -v54
	v_sub_f16_e32 v19, v19, v24
	v_fma_f16 v24, v23, 0x388b, -v79
	v_add_f16_e32 v28, v28, v37
	v_add_f16_e32 v37, v80, v75
	v_mul_f16_e32 v75, 0xb94e, v25
	v_add_f16_e32 v64, v77, v64
	v_fmamk_f16 v77, v23, 0x388b, v79
	v_add_f16_e32 v53, v54, v53
	v_add_f16_e32 v18, v18, v22
	v_fmamk_f16 v54, v23, 0xb9fd, v75
	v_fma_f16 v75, v23, 0xb9fd, -v75
	v_mul_f16_e32 v22, 0x3770, v19
	v_add_f16_e32 v24, v24, v43
	v_mul_f16_e32 v43, 0xbbf1, v19
	v_add_f16_e32 v30, v77, v30
	v_add_f16_e32 v46, v54, v46
	;; [unrolled: 1-line block ×3, first 2 shown]
	v_fmamk_f16 v75, v18, 0x3b15, v22
	v_fma_f16 v22, v18, 0x3b15, -v22
	v_fmamk_f16 v77, v18, 0x2fb7, v43
	v_mul_f16_e32 v78, 0x33a8, v19
	v_fma_f16 v43, v18, 0x2fb7, -v43
	v_sub_f16_e32 v15, v15, v17
	v_add_f16_e32 v22, v22, v28
	v_add_f16_e32 v28, v77, v37
	v_fmamk_f16 v37, v18, 0xbbc4, v78
	v_add_f16_e32 v43, v43, v53
	v_mul_f16_e32 v17, 0x3a95, v19
	v_fma_f16 v53, v18, 0xbbc4, -v78
	v_add_f16_e32 v14, v14, v16
	v_mul_f16_e32 v16, 0xba95, v15
	v_add_f16_e32 v64, v75, v64
	v_add_f16_e32 v30, v37, v30
	v_fmamk_f16 v37, v18, 0x388b, v17
	v_add_f16_e32 v24, v53, v24
	v_mul_f16_e32 v53, 0x33a8, v15
	v_fma_f16 v17, v18, 0x388b, -v17
	v_fmamk_f16 v75, v14, 0x388b, v16
	v_add_f16_e32 v37, v37, v46
	v_fma_f16 v16, v14, 0x388b, -v16
	v_fmamk_f16 v46, v14, 0xbbc4, v53
	v_add_f16_e32 v17, v17, v54
	v_add_f16_e32 v54, v75, v64
	v_mul_f16_e32 v64, 0x3770, v15
	v_add_f16_e32 v16, v16, v22
	v_add_f16_e32 v22, v46, v28
	v_fma_f16 v28, v14, 0xbbc4, -v53
	v_pk_mul_f16 v33, 0xb770ba95, v33 op_sel_hi:[1,0]
	v_fmamk_f16 v53, v14, 0x3b15, v64
	v_mul_f16_e32 v46, 0xbb7b, v15
	v_pk_mul_f16 v27, 0xba95bb7b, v27 op_sel_hi:[1,0]
	v_add_f16_e32 v28, v28, v43
	v_add_f16_e32 v4, v4, v12
	;; [unrolled: 1-line block ×3, first 2 shown]
	v_pk_fma_f16 v53, 0x3b15388b, v32, v33 op_sel_hi:[1,0,1]
	v_fmamk_f16 v43, v14, 0xb5ac, v46
	v_sub_f16_e32 v13, v11, v13
	v_pk_fma_f16 v11, 0x388bb5ac, v26, v27 op_sel_hi:[1,0,1]
	v_pk_fma_f16 v32, 0x3b15388b, v32, v33 op_sel_hi:[1,0,1] neg_lo:[0,0,1] neg_hi:[0,0,1]
	v_lshrrev_b32_e32 v12, 16, v53
	v_pk_mul_f16 v25, 0xbbf1b3a8, v25 op_sel_hi:[1,0]
	v_add_f16_e32 v37, v43, v37
	v_add_f16_e32 v33, v3, v53
	v_lshrrev_b32_e32 v43, 16, v11
	v_add_f16_e32 v12, v3, v12
	v_pk_add_f16 v3, v3, v32 op_sel_hi:[0,1]
	v_pk_fma_f16 v32, 0x2fb7bbc4, v23, v25 op_sel_hi:[1,0,1]
	v_pk_mul_f16 v19, 0xbb7b394e, v19 op_sel_hi:[1,0]
	v_pk_fma_f16 v26, 0x388bb5ac, v26, v27 op_sel_hi:[1,0,1] neg_lo:[0,0,1] neg_hi:[0,0,1]
	v_add_f16_e32 v12, v43, v12
	v_add_f16_e32 v11, v11, v33
	v_lshrrev_b32_e32 v27, 16, v32
	v_pk_fma_f16 v33, 0xb5acb9fd, v18, v19 op_sel_hi:[1,0,1]
	v_pk_add_f16 v3, v26, v3
	v_pk_mul_f16 v15, 0xb94e3bf1, v15 op_sel_hi:[1,0]
	v_pk_fma_f16 v23, 0x2fb7bbc4, v23, v25 op_sel_hi:[1,0,1] neg_lo:[0,0,1] neg_hi:[0,0,1]
	v_add_f16_e32 v12, v27, v12
	v_lshrrev_b32_e32 v25, 16, v33
	v_add_f16_e32 v11, v32, v11
	v_pk_fma_f16 v26, 0xb9fd2fb7, v14, v15 op_sel_hi:[1,0,1]
	v_pk_add_f16 v3, v23, v3
	v_pk_mul_f16 v23, 0xb3a83770, v13 op_sel_hi:[1,0]
	v_pk_fma_f16 v18, 0xb5acb9fd, v18, v19 op_sel_hi:[1,0,1] neg_lo:[0,0,1] neg_hi:[0,0,1]
	v_add_f16_e32 v12, v25, v12
	v_lshrrev_b32_e32 v19, 16, v26
	v_fma_f16 v64, v14, 0x3b15, -v64
	v_pk_fma_f16 v27, 0xbbc43b15, v4, v23 op_sel_hi:[1,0,1]
	v_fma_f16 v25, v14, 0xb5ac, -v46
	v_add_f16_e32 v11, v33, v11
	v_pk_add_f16 v3, v18, v3
	v_pk_fma_f16 v14, 0xb9fd2fb7, v14, v15 op_sel_hi:[1,0,1] neg_lo:[0,0,1] neg_hi:[0,0,1]
	v_mul_f16_e32 v18, 0xb94e, v13
	v_add_f16_e32 v12, v19, v12
	v_lshrrev_b32_e32 v15, 16, v27
	v_add_f16_e32 v11, v26, v11
	v_pk_add_f16 v3, v14, v3
	v_pk_fma_f16 v14, 0xbbc43b15, v4, v23 op_sel_hi:[1,0,1] neg_lo:[0,0,1] neg_hi:[0,0,1]
	v_fmamk_f16 v19, v4, 0xb9fd, v18
	v_add_f16_e32 v12, v15, v12
	v_mul_f16_e32 v15, 0x3a95, v13
	v_add_f16_e32 v23, v27, v11
	v_fma_f16 v18, v4, 0xb9fd, -v18
	v_pk_add_f16 v11, v14, v3
	v_add_f16_e32 v14, v19, v54
	v_mul_f16_e32 v19, 0xbb7b, v13
	v_fmamk_f16 v3, v4, 0x388b, v15
	v_mul_f16_e32 v13, 0x3bf1, v13
	v_add_f16_e32 v24, v64, v24
	v_add_f16_e32 v16, v18, v16
	v_fma_f16 v15, v4, 0x388b, -v15
	v_fmamk_f16 v18, v4, 0xb5ac, v19
	v_fma_f16 v19, v4, 0xb5ac, -v19
	v_add_f16_e32 v17, v25, v17
	v_add_f16_e32 v3, v3, v22
	v_fmamk_f16 v22, v4, 0x2fb7, v13
	v_fma_f16 v4, v4, 0x2fb7, -v13
	v_add_f16_e32 v13, v15, v28
	v_add_f16_e32 v15, v18, v30
	;; [unrolled: 1-line block ×5, first 2 shown]
	global_wb scope:SCOPE_SE
	s_wait_dscnt 0x0
	s_barrier_signal -1
	s_barrier_wait -1
	global_inv scope:SCOPE_SE
	ds_store_b16 v85, v76
	ds_store_b16 v85, v59 offset:52
	ds_store_b16 v85, v69 offset:104
	;; [unrolled: 1-line block ×12, first 2 shown]
	ds_store_b16 v84, v50
	ds_store_b16 v84, v12 offset:52
	ds_store_b16 v84, v23 offset:104
	ds_store_b16 v84, v14 offset:156
	ds_store_b16 v84, v3 offset:208
	ds_store_b16 v84, v15 offset:260
	ds_store_b16 v84, v19 offset:312
	ds_store_b16 v84, v4 offset:364
	v_lshrrev_b32_e32 v12, 16, v11
	ds_store_b16 v84, v18 offset:416
	ds_store_b16 v84, v13 offset:468
	;; [unrolled: 1-line block ×5, first 2 shown]
	global_wb scope:SCOPE_SE
	s_wait_dscnt 0x0
	s_barrier_signal -1
	s_barrier_wait -1
	global_inv scope:SCOPE_SE
	ds_load_u16 v19, v8 offset:780
	ds_load_u16 v18, v8 offset:1456
	;; [unrolled: 1-line block ×4, first 2 shown]
	ds_load_u16 v15, v8
	ds_load_u16 v16, v8 offset:104
	ds_load_u16 v17, v8 offset:208
	;; [unrolled: 1-line block ×19, first 2 shown]
                                        ; implicit-def: $vgpr14
                                        ; implicit-def: $vgpr13
	s_and_saveexec_b32 s1, s0
	s_cbranch_execz .LBB0_15
; %bb.14:
	ds_load_u16 v11, v8 offset:624
	ds_load_u16 v12, v8 offset:1300
	ds_load_u16 v14, v8 offset:1976
	ds_load_u16 v13, v8 offset:2652
	v_mov_b32_e32 v9, v7
.LBB0_15:
	s_wait_alu 0xfffe
	s_or_b32 exec_lo, exec_lo, s1
	s_and_saveexec_b32 s1, vcc_lo
	s_cbranch_execz .LBB0_18
; %bb.16:
	v_mul_u32_u24_e32 v3, 3, v5
	v_mul_hi_u32 v6, 0x60f25deb, v6
	s_delay_alu instid0(VALU_DEP_2) | instskip(SKIP_4) | instid1(VALU_DEP_2)
	v_dual_mov_b32 v4, 0 :: v_dual_lshlrev_b32 v7, 2, v3
	v_mad_u32_u24 v3, v5, 3, 0xffffff64
	global_load_b96 v[71:73], v7, s[4:5] offset:1344
	v_lshlrev_b64_e32 v[7:8], 2, v[3:4]
	v_mad_u32_u24 v3, v5, 3, 0xfffffec8
	v_add_co_u32 v7, vcc_lo, s4, v7
	s_wait_alu 0xfffd
	s_delay_alu instid0(VALU_DEP_3) | instskip(SKIP_3) | instid1(VALU_DEP_2)
	v_add_co_ci_u32_e32 v8, vcc_lo, s5, v8, vcc_lo
	global_load_b96 v[74:76], v[7:8], off offset:1344
	v_lshlrev_b64_e32 v[7:8], 2, v[3:4]
	v_mad_u32_u24 v3, v5, 3, 0xfffffe2c
	v_add_co_u32 v7, vcc_lo, s4, v7
	s_wait_alu 0xfffd
	s_delay_alu instid0(VALU_DEP_3) | instskip(SKIP_4) | instid1(VALU_DEP_3)
	v_add_co_ci_u32_e32 v8, vcc_lo, s5, v8, vcc_lo
	global_load_b96 v[77:79], v[7:8], off offset:1344
	v_lshlrev_b64_e32 v[7:8], 2, v[3:4]
	v_mad_u32_u24 v3, v5, 3, 0xfffffd90
	v_mul_hi_u32 v5, 0x60f25deb, v5
	v_add_co_u32 v7, vcc_lo, s4, v7
	s_wait_alu 0xfffd
	s_delay_alu instid0(VALU_DEP_4) | instskip(NEXT) | instid1(VALU_DEP_3)
	v_add_co_ci_u32_e32 v8, vcc_lo, s5, v8, vcc_lo
	v_lshrrev_b32_e32 v55, 7, v5
	global_load_b96 v[80:82], v[7:8], off offset:1344
	v_lshlrev_b64_e32 v[7:8], 2, v[3:4]
	v_mul_u32_u24_e32 v3, 3, v2
	s_delay_alu instid0(VALU_DEP_2) | instskip(SKIP_1) | instid1(VALU_DEP_3)
	v_add_co_u32 v7, vcc_lo, s4, v7
	s_wait_alu 0xfffd
	v_add_co_ci_u32_e32 v8, vcc_lo, s5, v8, vcc_lo
	s_delay_alu instid0(VALU_DEP_3)
	v_lshlrev_b32_e32 v3, 2, v3
	s_clause 0x1
	global_load_b96 v[83:85], v[7:8], off offset:1344
	global_load_b96 v[86:88], v3, s[4:5] offset:1344
	v_mov_b32_e32 v3, v4
	v_lshrrev_b32_e32 v7, 7, v6
	v_add_co_u32 v0, vcc_lo, s8, v0
	s_wait_alu 0xfffd
	v_add_co_ci_u32_e32 v1, vcc_lo, s9, v1, vcc_lo
	v_lshlrev_b64_e32 v[5:6], 2, v[2:3]
	v_mul_u32_u24_e32 v3, 0x3f6, v7
	s_delay_alu instid0(VALU_DEP_1) | instskip(NEXT) | instid1(VALU_DEP_3)
	v_lshlrev_b64_e32 v[7:8], 2, v[3:4]
	v_add_co_u32 v0, vcc_lo, v0, v5
	s_wait_alu 0xfffd
	s_delay_alu instid0(VALU_DEP_4) | instskip(SKIP_1) | instid1(VALU_DEP_3)
	v_add_co_ci_u32_e32 v1, vcc_lo, v1, v6, vcc_lo
	v_mul_u32_u24_e32 v3, 0x3f6, v55
	v_add_co_u32 v5, vcc_lo, v0, v7
	s_wait_alu 0xfffd
	s_delay_alu instid0(VALU_DEP_3) | instskip(NEXT) | instid1(VALU_DEP_3)
	v_add_co_ci_u32_e32 v6, vcc_lo, v1, v8, vcc_lo
	v_lshlrev_b64_e32 v[2:3], 2, v[3:4]
	s_delay_alu instid0(VALU_DEP_1) | instskip(SKIP_1) | instid1(VALU_DEP_2)
	v_add_co_u32 v2, vcc_lo, v0, v2
	s_wait_alu 0xfffd
	v_add_co_ci_u32_e32 v3, vcc_lo, v1, v3, vcc_lo
	s_wait_loadcnt 0x5
	v_lshrrev_b32_e32 v7, 16, v71
	v_lshrrev_b32_e32 v8, 16, v72
	v_lshrrev_b32_e32 v55, 16, v73
	s_wait_dscnt 0x7
	v_mul_f16_e32 v57, v53, v71
	s_wait_dscnt 0x2
	v_mul_f16_e32 v59, v54, v73
	s_wait_dscnt 0x0
	v_mul_f16_e32 v64, v50, v8
	v_mul_f16_e32 v8, v70, v8
	v_fmac_f16_e32 v57, v67, v7
	v_fmac_f16_e32 v59, v68, v55
	v_mul_f16_e32 v7, v53, v7
	v_mul_f16_e32 v53, v54, v55
	v_fma_f16 v64, v70, v72, -v64
	v_fmac_f16_e32 v8, v50, v72
	s_wait_loadcnt 0x4
	v_lshrrev_b32_e32 v54, 16, v74
	v_lshrrev_b32_e32 v55, 16, v75
	;; [unrolled: 1-line block ×3, first 2 shown]
	v_mul_f16_e32 v69, v43, v74
	v_mul_f16_e32 v89, v46, v76
	v_fma_f16 v7, v67, v71, -v7
	v_fma_f16 v50, v68, v73, -v53
	v_mul_f16_e32 v53, v38, v55
	v_fmac_f16_e32 v69, v62, v54
	v_fmac_f16_e32 v89, v65, v66
	v_mul_f16_e32 v55, v63, v55
	v_mul_f16_e32 v43, v43, v54
	;; [unrolled: 1-line block ×3, first 2 shown]
	v_sub_f16_e32 v59, v57, v59
	s_wait_loadcnt 0x3
	v_lshrrev_b32_e32 v54, 16, v77
	v_lshrrev_b32_e32 v66, 16, v78
	;; [unrolled: 1-line block ×3, first 2 shown]
	v_mul_f16_e32 v68, v37, v79
	v_sub_f16_e32 v64, v61, v64
	v_sub_f16_e32 v8, v36, v8
	;; [unrolled: 1-line block ×3, first 2 shown]
	v_fma_f16 v53, v63, v75, -v53
	v_sub_f16_e32 v63, v69, v89
	v_fmac_f16_e32 v55, v38, v75
	v_fma_f16 v38, v62, v74, -v43
	v_fma_f16 v43, v65, v76, -v46
	v_mul_f16_e32 v46, v33, v66
	v_mul_f16_e32 v62, v58, v54
	v_fmac_f16_e32 v68, v60, v67
	v_mul_f16_e32 v65, v56, v66
	v_mul_f16_e32 v54, v34, v54
	;; [unrolled: 1-line block ×3, first 2 shown]
	s_wait_loadcnt 0x2
	v_lshrrev_b32_e32 v66, 16, v80
	v_lshrrev_b32_e32 v67, 16, v81
	;; [unrolled: 1-line block ×3, first 2 shown]
	v_fma_f16 v57, v57, 2.0, -v59
	v_sub_f16_e32 v59, v64, v59
	v_add_f16_e32 v71, v8, v50
	v_fma_f16 v61, v61, 2.0, -v64
	v_fma_f16 v7, v7, 2.0, -v50
	;; [unrolled: 1-line block ×3, first 2 shown]
	v_sub_f16_e32 v50, v51, v53
	v_sub_f16_e32 v53, v30, v55
	v_sub_f16_e32 v43, v38, v43
	v_fma_f16 v55, v69, 2.0, -v63
	v_fma_f16 v46, v56, v78, -v46
	v_fmac_f16_e32 v62, v34, v77
	v_fmac_f16_e32 v65, v33, v78
	v_fma_f16 v33, v58, v77, -v54
	v_fma_f16 v34, v60, v79, -v37
	v_mul_f16_e32 v37, v27, v67
	v_mul_f16_e32 v54, v49, v66
	;; [unrolled: 1-line block ×6, first 2 shown]
	s_wait_loadcnt 0x1
	v_lshrrev_b32_e32 v67, 16, v83
	v_lshrrev_b32_e32 v69, 16, v84
	v_lshrrev_b32_e32 v70, 16, v85
	s_wait_loadcnt 0x0
	v_lshrrev_b32_e32 v72, 16, v86
	v_lshrrev_b32_e32 v73, 16, v87
	;; [unrolled: 1-line block ×3, first 2 shown]
	v_fma_f16 v64, v64, 2.0, -v59
	v_fma_f16 v8, v8, 2.0, -v71
	v_sub_f16_e32 v7, v61, v7
	v_sub_f16_e32 v57, v36, v57
	v_pack_b32_f16 v59, v59, v71
	v_add_f16_e32 v71, v53, v43
	v_fma_f16 v38, v38, 2.0, -v43
	v_sub_f16_e32 v43, v42, v46
	v_sub_f16_e32 v46, v62, v68
	;; [unrolled: 1-line block ×4, first 2 shown]
	v_fma_f16 v37, v48, v81, -v37
	v_fmac_f16_e32 v54, v28, v80
	v_fmac_f16_e32 v56, v32, v82
	;; [unrolled: 1-line block ×3, first 2 shown]
	v_fma_f16 v27, v49, v80, -v60
	v_fma_f16 v28, v52, v82, -v66
	v_mul_f16_e32 v32, v18, v69
	v_mul_f16_e32 v48, v40, v67
	;; [unrolled: 1-line block ×12, first 2 shown]
	v_fma_f16 v61, v61, 2.0, -v7
	v_fma_f16 v36, v36, 2.0, -v57
	v_pack_b32_f16 v8, v64, v8
	v_pack_b32_f16 v7, v7, v57
	v_sub_f16_e32 v57, v43, v46
	v_add_f16_e32 v64, v65, v34
	v_fma_f16 v33, v33, 2.0, -v34
	v_fma_f16 v34, v62, 2.0, -v46
	v_sub_f16_e32 v37, v35, v37
	v_sub_f16_e32 v46, v54, v56
	;; [unrolled: 1-line block ×4, first 2 shown]
	v_fma_f16 v32, v45, v84, -v32
	v_fmac_f16_e32 v48, v19, v83
	v_fmac_f16_e32 v49, v26, v85
	;; [unrolled: 1-line block ×3, first 2 shown]
	v_fma_f16 v18, v40, v83, -v60
	v_fma_f16 v19, v47, v85, -v66
	v_fma_f16 v26, v41, v87, -v67
	v_fmac_f16_e32 v68, v22, v86
	v_fmac_f16_e32 v69, v25, v88
	;; [unrolled: 1-line block ×3, first 2 shown]
	v_fma_f16 v22, v39, v86, -v72
	v_fma_f16 v23, v44, v88, -v73
	v_sub_f16_e32 v63, v50, v63
	v_fma_f16 v51, v51, 2.0, -v50
	v_fma_f16 v30, v30, 2.0, -v53
	;; [unrolled: 1-line block ×4, first 2 shown]
	v_sub_f16_e32 v43, v37, v46
	v_add_f16_e32 v44, v56, v28
	v_fma_f16 v27, v27, 2.0, -v28
	v_fma_f16 v28, v54, 2.0, -v46
	v_sub_f16_e32 v32, v31, v32
	v_sub_f16_e32 v45, v48, v49
	;; [unrolled: 1-line block ×8, first 2 shown]
	v_fma_f16 v50, v50, 2.0, -v63
	v_fma_f16 v53, v53, 2.0, -v71
	v_sub_f16_e32 v38, v51, v38
	v_sub_f16_e32 v55, v30, v55
	v_fma_f16 v24, v24, 2.0, -v65
	v_fma_f16 v35, v35, 2.0, -v37
	;; [unrolled: 1-line block ×3, first 2 shown]
	v_add_f16_e32 v54, v46, v19
	v_fma_f16 v31, v31, 2.0, -v32
	v_fma_f16 v18, v18, 2.0, -v19
	;; [unrolled: 1-line block ×4, first 2 shown]
	v_add_f16_e32 v48, v49, v23
	v_fma_f16 v29, v29, 2.0, -v26
	v_fma_f16 v22, v22, 2.0, -v23
	;; [unrolled: 1-line block ×6, first 2 shown]
	v_sub_f16_e32 v33, v42, v33
	v_sub_f16_e32 v34, v24, v34
	v_pack_b32_f16 v50, v50, v53
	v_sub_f16_e32 v27, v35, v27
	v_sub_f16_e32 v28, v17, v28
	;; [unrolled: 1-line block ×8, first 2 shown]
	v_fma_f16 v41, v65, 2.0, -v64
	v_fma_f16 v42, v42, 2.0, -v33
	;; [unrolled: 1-line block ×5, first 2 shown]
	v_pack_b32_f16 v33, v33, v34
	v_pack_b32_f16 v30, v39, v30
	v_fma_f16 v34, v35, 2.0, -v27
	v_fma_f16 v17, v17, 2.0, -v28
	;; [unrolled: 1-line block ×6, first 2 shown]
	v_pack_b32_f16 v27, v27, v28
	v_fma_f16 v28, v31, 2.0, -v18
	v_fma_f16 v16, v16, 2.0, -v19
	;; [unrolled: 1-line block ×4, first 2 shown]
	v_pack_b32_f16 v22, v22, v23
	v_pack_b32_f16 v18, v18, v19
	;; [unrolled: 1-line block ×17, first 2 shown]
	s_clause 0x17
	global_store_b32 v[0:1], v22, off offset:2704
	global_store_b32 v[0:1], v18, off offset:2912
	;; [unrolled: 1-line block ×8, first 2 shown]
	global_store_b32 v[0:1], v15, off
	global_store_b32 v[0:1], v16, off offset:208
	global_store_b32 v[0:1], v17, off offset:416
	;; [unrolled: 1-line block ×15, first 2 shown]
	s_and_b32 exec_lo, exec_lo, s0
	s_cbranch_execz .LBB0_18
; %bb.17:
	v_mul_i32_i24_e32 v3, 3, v9
	v_lshrrev_b32_e32 v6, 16, v10
	s_delay_alu instid0(VALU_DEP_2) | instskip(NEXT) | instid1(VALU_DEP_1)
	v_lshlrev_b64_e32 v[2:3], 2, v[3:4]
	v_add_co_u32 v2, vcc_lo, s4, v2
	s_wait_alu 0xfffd
	s_delay_alu instid0(VALU_DEP_2)
	v_add_co_ci_u32_e32 v3, vcc_lo, s5, v3, vcc_lo
	global_load_b96 v[2:4], v[2:3], off offset:1344
	s_wait_loadcnt 0x0
	v_lshrrev_b32_e32 v5, 16, v2
	v_lshrrev_b32_e32 v7, 16, v3
	;; [unrolled: 1-line block ×3, first 2 shown]
	s_delay_alu instid0(VALU_DEP_3) | instskip(SKIP_1) | instid1(VALU_DEP_4)
	v_mul_f16_e32 v9, v12, v5
	v_mul_f16_e32 v5, v6, v5
	;; [unrolled: 1-line block ×6, first 2 shown]
	v_fma_f16 v6, v6, v2, -v9
	v_fmac_f16_e32 v5, v12, v2
	v_fma_f16 v2, v20, v3, -v15
	v_fmac_f16_e32 v7, v14, v3
	;; [unrolled: 2-line block ×3, first 2 shown]
	s_delay_alu instid0(VALU_DEP_4) | instskip(NEXT) | instid1(VALU_DEP_4)
	v_sub_f16_e32 v2, v10, v2
	v_sub_f16_e32 v4, v11, v7
	s_delay_alu instid0(VALU_DEP_4) | instskip(NEXT) | instid1(VALU_DEP_4)
	v_sub_f16_e32 v3, v6, v3
	v_sub_f16_e32 v7, v5, v8
	s_delay_alu instid0(VALU_DEP_4) | instskip(NEXT) | instid1(VALU_DEP_4)
	v_fma_f16 v8, v10, 2.0, -v2
	v_fma_f16 v9, v11, 2.0, -v4
	s_delay_alu instid0(VALU_DEP_4) | instskip(NEXT) | instid1(VALU_DEP_4)
	v_fma_f16 v6, v6, 2.0, -v3
	v_fma_f16 v5, v5, 2.0, -v7
	v_sub_f16_e32 v7, v2, v7
	v_add_f16_e32 v3, v4, v3
	s_delay_alu instid0(VALU_DEP_4) | instskip(NEXT) | instid1(VALU_DEP_4)
	v_sub_f16_e32 v6, v8, v6
	v_sub_f16_e32 v5, v9, v5
	s_delay_alu instid0(VALU_DEP_4) | instskip(NEXT) | instid1(VALU_DEP_4)
	v_fma_f16 v2, v2, 2.0, -v7
	v_fma_f16 v4, v4, 2.0, -v3
	v_pack_b32_f16 v3, v7, v3
	v_fma_f16 v8, v8, 2.0, -v6
	v_fma_f16 v9, v9, 2.0, -v5
	s_delay_alu instid0(VALU_DEP_4) | instskip(SKIP_1) | instid1(VALU_DEP_3)
	v_pack_b32_f16 v2, v2, v4
	v_pack_b32_f16 v4, v6, v5
	;; [unrolled: 1-line block ×3, first 2 shown]
	s_clause 0x3
	global_store_b32 v[0:1], v8, off offset:1248
	global_store_b32 v[0:1], v2, off offset:2600
	;; [unrolled: 1-line block ×4, first 2 shown]
.LBB0_18:
	s_nop 0
	s_sendmsg sendmsg(MSG_DEALLOC_VGPRS)
	s_endpgm
	.section	.rodata,"a",@progbits
	.p2align	6, 0x0
	.amdhsa_kernel fft_rtc_fwd_len1352_factors_2_13_13_4_wgs_52_tpt_52_halfLds_half_ip_CI_unitstride_sbrr_dirReg
		.amdhsa_group_segment_fixed_size 0
		.amdhsa_private_segment_fixed_size 0
		.amdhsa_kernarg_size 88
		.amdhsa_user_sgpr_count 2
		.amdhsa_user_sgpr_dispatch_ptr 0
		.amdhsa_user_sgpr_queue_ptr 0
		.amdhsa_user_sgpr_kernarg_segment_ptr 1
		.amdhsa_user_sgpr_dispatch_id 0
		.amdhsa_user_sgpr_private_segment_size 0
		.amdhsa_wavefront_size32 1
		.amdhsa_uses_dynamic_stack 0
		.amdhsa_enable_private_segment 0
		.amdhsa_system_sgpr_workgroup_id_x 1
		.amdhsa_system_sgpr_workgroup_id_y 0
		.amdhsa_system_sgpr_workgroup_id_z 0
		.amdhsa_system_sgpr_workgroup_info 0
		.amdhsa_system_vgpr_workitem_id 0
		.amdhsa_next_free_vgpr 121
		.amdhsa_next_free_sgpr 32
		.amdhsa_reserve_vcc 1
		.amdhsa_float_round_mode_32 0
		.amdhsa_float_round_mode_16_64 0
		.amdhsa_float_denorm_mode_32 3
		.amdhsa_float_denorm_mode_16_64 3
		.amdhsa_fp16_overflow 0
		.amdhsa_workgroup_processor_mode 1
		.amdhsa_memory_ordered 1
		.amdhsa_forward_progress 0
		.amdhsa_round_robin_scheduling 0
		.amdhsa_exception_fp_ieee_invalid_op 0
		.amdhsa_exception_fp_denorm_src 0
		.amdhsa_exception_fp_ieee_div_zero 0
		.amdhsa_exception_fp_ieee_overflow 0
		.amdhsa_exception_fp_ieee_underflow 0
		.amdhsa_exception_fp_ieee_inexact 0
		.amdhsa_exception_int_div_zero 0
	.end_amdhsa_kernel
	.text
.Lfunc_end0:
	.size	fft_rtc_fwd_len1352_factors_2_13_13_4_wgs_52_tpt_52_halfLds_half_ip_CI_unitstride_sbrr_dirReg, .Lfunc_end0-fft_rtc_fwd_len1352_factors_2_13_13_4_wgs_52_tpt_52_halfLds_half_ip_CI_unitstride_sbrr_dirReg
                                        ; -- End function
	.section	.AMDGPU.csdata,"",@progbits
; Kernel info:
; codeLenInByte = 19940
; NumSgprs: 34
; NumVgprs: 121
; ScratchSize: 0
; MemoryBound: 0
; FloatMode: 240
; IeeeMode: 1
; LDSByteSize: 0 bytes/workgroup (compile time only)
; SGPRBlocks: 4
; VGPRBlocks: 15
; NumSGPRsForWavesPerEU: 34
; NumVGPRsForWavesPerEU: 121
; Occupancy: 10
; WaveLimiterHint : 1
; COMPUTE_PGM_RSRC2:SCRATCH_EN: 0
; COMPUTE_PGM_RSRC2:USER_SGPR: 2
; COMPUTE_PGM_RSRC2:TRAP_HANDLER: 0
; COMPUTE_PGM_RSRC2:TGID_X_EN: 1
; COMPUTE_PGM_RSRC2:TGID_Y_EN: 0
; COMPUTE_PGM_RSRC2:TGID_Z_EN: 0
; COMPUTE_PGM_RSRC2:TIDIG_COMP_CNT: 0
	.text
	.p2alignl 7, 3214868480
	.fill 96, 4, 3214868480
	.type	__hip_cuid_ce30c6f2bf5275eb,@object ; @__hip_cuid_ce30c6f2bf5275eb
	.section	.bss,"aw",@nobits
	.globl	__hip_cuid_ce30c6f2bf5275eb
__hip_cuid_ce30c6f2bf5275eb:
	.byte	0                               ; 0x0
	.size	__hip_cuid_ce30c6f2bf5275eb, 1

	.ident	"AMD clang version 19.0.0git (https://github.com/RadeonOpenCompute/llvm-project roc-6.4.0 25133 c7fe45cf4b819c5991fe208aaa96edf142730f1d)"
	.section	".note.GNU-stack","",@progbits
	.addrsig
	.addrsig_sym __hip_cuid_ce30c6f2bf5275eb
	.amdgpu_metadata
---
amdhsa.kernels:
  - .args:
      - .actual_access:  read_only
        .address_space:  global
        .offset:         0
        .size:           8
        .value_kind:     global_buffer
      - .offset:         8
        .size:           8
        .value_kind:     by_value
      - .actual_access:  read_only
        .address_space:  global
        .offset:         16
        .size:           8
        .value_kind:     global_buffer
      - .actual_access:  read_only
        .address_space:  global
        .offset:         24
        .size:           8
        .value_kind:     global_buffer
      - .offset:         32
        .size:           8
        .value_kind:     by_value
      - .actual_access:  read_only
        .address_space:  global
        .offset:         40
        .size:           8
        .value_kind:     global_buffer
      - .actual_access:  read_only
        .address_space:  global
        .offset:         48
        .size:           8
        .value_kind:     global_buffer
      - .offset:         56
        .size:           4
        .value_kind:     by_value
      - .actual_access:  read_only
        .address_space:  global
        .offset:         64
        .size:           8
        .value_kind:     global_buffer
      - .actual_access:  read_only
        .address_space:  global
        .offset:         72
        .size:           8
        .value_kind:     global_buffer
      - .address_space:  global
        .offset:         80
        .size:           8
        .value_kind:     global_buffer
    .group_segment_fixed_size: 0
    .kernarg_segment_align: 8
    .kernarg_segment_size: 88
    .language:       OpenCL C
    .language_version:
      - 2
      - 0
    .max_flat_workgroup_size: 52
    .name:           fft_rtc_fwd_len1352_factors_2_13_13_4_wgs_52_tpt_52_halfLds_half_ip_CI_unitstride_sbrr_dirReg
    .private_segment_fixed_size: 0
    .sgpr_count:     34
    .sgpr_spill_count: 0
    .symbol:         fft_rtc_fwd_len1352_factors_2_13_13_4_wgs_52_tpt_52_halfLds_half_ip_CI_unitstride_sbrr_dirReg.kd
    .uniform_work_group_size: 1
    .uses_dynamic_stack: false
    .vgpr_count:     121
    .vgpr_spill_count: 0
    .wavefront_size: 32
    .workgroup_processor_mode: 1
amdhsa.target:   amdgcn-amd-amdhsa--gfx1201
amdhsa.version:
  - 1
  - 2
...

	.end_amdgpu_metadata
